;; amdgpu-corpus repo=pytorch/pytorch kind=compiled arch=gfx950 opt=O3
	.amdgcn_target "amdgcn-amd-amdhsa--gfx950"
	.amdhsa_code_object_version 6
	.section	.text._ZN2at6native12_GLOBAL__N_127reflection_pad2d_out_kernelIhEEvPKT_PS3_lliiiiiii,"axG",@progbits,_ZN2at6native12_GLOBAL__N_127reflection_pad2d_out_kernelIhEEvPKT_PS3_lliiiiiii,comdat
	.globl	_ZN2at6native12_GLOBAL__N_127reflection_pad2d_out_kernelIhEEvPKT_PS3_lliiiiiii ; -- Begin function _ZN2at6native12_GLOBAL__N_127reflection_pad2d_out_kernelIhEEvPKT_PS3_lliiiiiii
	.p2align	8
	.type	_ZN2at6native12_GLOBAL__N_127reflection_pad2d_out_kernelIhEEvPKT_PS3_lliiiiiii,@function
_ZN2at6native12_GLOBAL__N_127reflection_pad2d_out_kernelIhEEvPKT_PS3_lliiiiiii: ; @_ZN2at6native12_GLOBAL__N_127reflection_pad2d_out_kernelIhEEvPKT_PS3_lliiiiiii
; %bb.0:
	s_load_dword s5, s[0:1], 0x4c
	s_load_dwordx4 s[16:19], s[0:1], 0x20
	s_load_dwordx8 s[8:15], s[0:1], 0x0
	v_mov_b32_e32 v1, 0
	s_waitcnt lgkmcnt(0)
	s_and_b32 s5, s5, 0xffff
	s_ashr_i32 s21, s18, 31
	s_add_u32 s31, s12, s18
	s_mul_i32 s2, s2, s5
	s_addc_u32 s33, s13, s21
	s_ashr_i32 s5, s19, 31
	v_add_u32_e32 v0, s2, v0
	s_add_u32 s2, s31, s19
	s_addc_u32 s7, s33, s5
	s_ashr_i32 s23, s16, 31
	s_add_u32 s34, s14, s16
	s_addc_u32 s35, s15, s23
	s_ashr_i32 s6, s17, 31
	s_add_u32 s5, s34, s17
	s_addc_u32 s30, s35, s6
	s_mov_b32 s22, s16
	s_mul_i32 s6, s2, s30
	s_mul_hi_u32 s16, s2, s5
	s_add_i32 s6, s16, s6
	s_mul_i32 s16, s7, s5
	s_add_i32 s17, s6, s16
	s_mul_i32 s16, s2, s5
	v_cmp_gt_i64_e32 vcc, s[16:17], v[0:1]
	s_and_saveexec_b64 s[16:17], vcc
	s_cbranch_execz .LBB0_5
; %bb.1:
	s_mov_b32 s20, s18
	s_load_dwordx4 s[16:19], s[0:1], 0x30
	s_mov_b32 s6, 0
	s_cmp_lg_u64 s[6:7], 0
	s_cbranch_scc0 .LBB0_6
; %bb.2:
	s_ashr_i32 s24, s7, 31
	s_add_u32 s0, s2, s24
	s_mov_b32 s25, s24
	s_addc_u32 s1, s7, s24
	s_xor_b64 s[28:29], s[0:1], s[24:25]
	v_cvt_f32_u32_e32 v2, s28
	v_cvt_f32_u32_e32 v3, s29
	s_sub_u32 s6, 0, s28
	s_waitcnt lgkmcnt(0)
	s_subb_u32 s19, 0, s29
	v_lshl_add_u64 v[4:5], v[0:1], 0, 0
	v_fmamk_f32 v2, v3, 0x4f800000, v2
	v_rcp_f32_e32 v2, v2
	s_nop 0
	v_mul_f32_e32 v2, 0x5f7ffffc, v2
	v_mul_f32_e32 v3, 0x2f800000, v2
	v_trunc_f32_e32 v3, v3
	v_fmamk_f32 v2, v3, 0xcf800000, v2
	v_cvt_u32_f32_e32 v3, v3
	v_cvt_u32_f32_e32 v2, v2
	v_readfirstlane_b32 s25, v3
	v_readfirstlane_b32 s0, v2
	s_mul_i32 s1, s6, s25
	s_mul_hi_u32 s37, s6, s0
	s_mul_i32 s36, s19, s0
	s_add_i32 s1, s37, s1
	s_add_i32 s1, s1, s36
	s_mul_i32 s38, s6, s0
	s_mul_i32 s37, s0, s1
	s_mul_hi_u32 s39, s0, s38
	s_mul_hi_u32 s36, s0, s1
	s_add_u32 s37, s39, s37
	s_addc_u32 s36, 0, s36
	s_mul_hi_u32 s40, s25, s38
	s_mul_i32 s38, s25, s38
	s_add_u32 s37, s37, s38
	s_mul_hi_u32 s39, s25, s1
	s_addc_u32 s36, s36, s40
	s_addc_u32 s37, s39, 0
	s_mul_i32 s1, s25, s1
	s_add_u32 s1, s36, s1
	s_addc_u32 s36, 0, s37
	s_add_u32 s37, s0, s1
	s_cselect_b64 s[0:1], -1, 0
	s_cmp_lg_u64 s[0:1], 0
	s_addc_u32 s25, s25, s36
	s_mul_i32 s0, s6, s25
	s_mul_hi_u32 s1, s6, s37
	s_add_i32 s0, s1, s0
	s_mul_i32 s19, s19, s37
	s_add_i32 s0, s0, s19
	s_mul_i32 s6, s6, s37
	s_mul_hi_u32 s19, s25, s6
	s_mul_i32 s36, s25, s6
	s_mul_i32 s39, s37, s0
	s_mul_hi_u32 s6, s37, s6
	s_mul_hi_u32 s38, s37, s0
	s_add_u32 s6, s6, s39
	s_addc_u32 s38, 0, s38
	s_add_u32 s6, s6, s36
	s_mul_hi_u32 s1, s25, s0
	s_addc_u32 s6, s38, s19
	s_addc_u32 s1, s1, 0
	s_mul_i32 s0, s25, s0
	s_add_u32 s0, s6, s0
	s_addc_u32 s6, 0, s1
	s_add_u32 s19, s37, s0
	s_cselect_b64 s[0:1], -1, 0
	s_cmp_lg_u64 s[0:1], 0
	s_addc_u32 s6, s25, s6
	v_mov_b32_e32 v3, 0
	v_mad_u64_u32 v[6:7], s[0:1], v4, s6, 0
	v_mul_hi_u32 v2, v4, s19
	v_lshl_add_u64 v[6:7], v[2:3], 0, v[6:7]
	v_mad_u64_u32 v[10:11], s[0:1], v5, s19, 0
	v_add_co_u32_e32 v1, vcc, v6, v10
	v_mad_u64_u32 v[8:9], s[0:1], v5, s6, 0
	s_nop 0
	v_addc_co_u32_e32 v2, vcc, v7, v11, vcc
	s_nop 1
	v_addc_co_u32_e32 v9, vcc, 0, v9, vcc
	v_lshl_add_u64 v[2:3], v[2:3], 0, v[8:9]
	v_mul_lo_u32 v1, s29, v2
	v_mul_lo_u32 v8, s28, v3
	v_mad_u64_u32 v[6:7], s[0:1], s28, v2, 0
	v_add3_u32 v1, v7, v8, v1
	v_sub_u32_e32 v7, v5, v1
	v_mov_b32_e32 v8, s29
	v_sub_co_u32_e32 v4, vcc, v4, v6
	s_nop 1
	v_subb_co_u32_e64 v6, s[0:1], v7, v8, vcc
	v_subrev_co_u32_e64 v7, s[0:1], s28, v4
	v_subb_co_u32_e32 v1, vcc, v5, v1, vcc
	s_nop 0
	v_subbrev_co_u32_e64 v6, s[0:1], 0, v6, s[0:1]
	v_cmp_le_u32_e64 s[0:1], s29, v6
	v_cmp_le_u32_e32 vcc, s29, v1
	s_nop 0
	v_cndmask_b32_e64 v8, 0, -1, s[0:1]
	v_cmp_le_u32_e64 s[0:1], s28, v7
	v_cndmask_b32_e64 v5, 0, -1, vcc
	v_cmp_le_u32_e32 vcc, s28, v4
	v_cndmask_b32_e64 v7, 0, -1, s[0:1]
	v_cmp_eq_u32_e64 s[0:1], s29, v6
	v_cndmask_b32_e64 v4, 0, -1, vcc
	v_cmp_eq_u32_e32 vcc, s29, v1
	v_cndmask_b32_e64 v10, v8, v7, s[0:1]
	v_lshl_add_u64 v[6:7], v[2:3], 0, 2
	v_lshl_add_u64 v[8:9], v[2:3], 0, 1
	v_cmp_ne_u32_e64 s[0:1], 0, v10
	v_cndmask_b32_e32 v1, v5, v4, vcc
	v_cmp_ne_u32_e32 vcc, 0, v1
	v_cndmask_b32_e64 v7, v9, v7, s[0:1]
	s_nop 0
	v_cndmask_b32_e32 v1, v3, v7, vcc
	v_cndmask_b32_e64 v3, v8, v6, s[0:1]
	v_cndmask_b32_e32 v2, v2, v3, vcc
	v_xor_b32_e32 v2, s24, v2
	v_xor_b32_e32 v1, s24, v1
	v_mov_b32_e32 v3, s24
	v_subrev_co_u32_e32 v2, vcc, s24, v2
	s_nop 1
	v_subb_co_u32_e32 v3, vcc, v1, v3, vcc
	s_cbranch_execnz .LBB0_4
.LBB0_3:
	v_cvt_f32_u32_e32 v1, s2
	s_sub_i32 s0, 0, s2
	v_rcp_iflag_f32_e32 v1, v1
	s_nop 0
	v_mul_f32_e32 v1, 0x4f7ffffe, v1
	v_cvt_u32_f32_e32 v1, v1
	v_mul_lo_u32 v2, s0, v1
	v_mul_hi_u32 v2, v1, v2
	v_add_u32_e32 v1, v1, v2
	v_mul_hi_u32 v1, v0, v1
	v_mul_lo_u32 v2, v1, s2
	v_sub_u32_e32 v2, v0, v2
	v_add_u32_e32 v3, 1, v1
	v_subrev_u32_e32 v4, s2, v2
	v_cmp_le_u32_e32 vcc, s2, v2
	s_nop 1
	v_cndmask_b32_e32 v2, v2, v4, vcc
	v_cndmask_b32_e32 v1, v1, v3, vcc
	v_add_u32_e32 v3, 1, v1
	v_cmp_le_u32_e32 vcc, s2, v2
	s_nop 1
	v_cndmask_b32_e32 v2, v1, v3, vcc
	v_mov_b32_e32 v3, 0
.LBB0_4:
	s_sub_u32 s0, 0, s22
	s_subb_u32 s1, 0, s23
	s_sub_u32 s24, 0, s20
	s_subb_u32 s25, 0, s21
	s_waitcnt lgkmcnt(0)
	s_add_i32 s4, s17, s4
	s_add_i32 s3, s16, s3
	s_mul_i32 s4, s4, s18
	s_add_i32 s3, s3, s4
	s_mul_i32 s4, s15, s3
	s_mul_hi_u32 s6, s14, s3
	s_add_i32 s6, s6, s4
	s_mul_i32 s4, s14, s3
	v_mul_lo_u32 v1, v3, s2
	v_mul_lo_u32 v6, v2, s7
	v_mad_u64_u32 v[4:5], s[14:15], v2, s2, 0
	v_add3_u32 v1, v5, v6, v1
	v_sub_co_u32_e32 v0, vcc, v0, v4
	v_mov_b32_e32 v4, s21
	s_nop 0
	v_subb_co_u32_e32 v1, vcc, 0, v1, vcc
	v_subrev_co_u32_e32 v5, vcc, s20, v0
	v_cmp_gt_i64_e64 s[14:15], s[24:25], 0
	s_nop 0
	v_subb_co_u32_e32 v4, vcc, v1, v4, vcc
	v_ashrrev_i32_e32 v6, 31, v4
	v_xor_b32_e32 v7, v4, v6
	v_xor_b32_e32 v4, v5, v6
	v_sub_co_u32_e32 v4, vcc, v4, v6
	s_and_b64 s[14:15], s[14:15], exec
	s_nop 0
	v_subb_co_u32_e32 v5, vcc, v7, v6, vcc
	v_mov_b32_e32 v7, s33
	v_subrev_co_u32_e32 v6, vcc, s31, v0
	v_cmp_gt_i64_e64 s[14:15], s[0:1], 0
	s_nop 0
	v_subb_co_u32_e32 v7, vcc, v1, v7, vcc
	v_lshl_add_u64 v[6:7], v[6:7], 0, 1
	v_ashrrev_i32_e32 v8, 31, v7
	v_xor_b32_e32 v6, v6, v8
	v_xor_b32_e32 v7, v7, v8
	v_sub_co_u32_e32 v6, vcc, v6, v8
	s_cselect_b32 s16, s25, 0
	s_nop 0
	v_subb_co_u32_e32 v7, vcc, v7, v8, vcc
	s_cselect_b32 s17, s24, 0
	s_and_b64 s[14:15], s[14:15], exec
	v_mov_b32_e32 v8, s23
	v_subrev_co_u32_e32 v9, vcc, s22, v2
	s_cselect_b32 s18, s1, 0
	s_cselect_b32 s19, s0, 0
	v_cmp_gt_i64_e64 s[0:1], s[20:21], 0
	v_subb_co_u32_e32 v8, vcc, v3, v8, vcc
	s_and_b64 s[0:1], s[0:1], exec
	v_cmp_gt_i64_e64 s[14:15], s[22:23], 0
	v_ashrrev_i32_e32 v10, 31, v8
	s_cselect_b32 s1, s21, 0
	s_cselect_b32 s0, s20, 0
	s_and_b64 s[14:15], s[14:15], exec
	v_xor_b32_e32 v11, v8, v10
	v_xor_b32_e32 v8, v9, v10
	s_cselect_b32 s15, s23, 0
	s_cselect_b32 s14, s22, 0
	v_sub_co_u32_e32 v8, vcc, v8, v10
	s_not_b64 s[0:1], s[0:1]
	s_nop 0
	v_subb_co_u32_e32 v9, vcc, v11, v10, vcc
	s_not_b64 s[14:15], s[14:15]
	v_mov_b32_e32 v11, s35
	v_subrev_co_u32_e32 v10, vcc, s34, v2
	s_add_u32 s22, s34, s22
	s_nop 0
	v_subb_co_u32_e32 v11, vcc, v3, v11, vcc
	s_addc_u32 s23, s35, s23
	v_lshl_add_u64 v[10:11], v[10:11], 0, 1
	s_add_u32 s14, s22, s14
	v_ashrrev_i32_e32 v12, 31, v11
	s_addc_u32 s15, s23, s15
	v_xor_b32_e32 v10, v10, v12
	s_add_u32 s14, s14, s19
	v_xor_b32_e32 v11, v11, v12
	v_sub_co_u32_e32 v10, vcc, v10, v12
	s_addc_u32 s15, s15, s18
	s_nop 0
	v_subb_co_u32_e32 v11, vcc, v11, v12, vcc
	s_add_u32 s4, s14, s4
	s_addc_u32 s6, s15, s6
	v_lshl_add_u64 v[10:11], v[2:3], 0, v[10:11]
	v_sub_co_u32_e32 v10, vcc, s4, v10
	s_add_u32 s4, s31, s20
	v_mov_b32_e32 v12, s6
	s_addc_u32 s6, s33, s21
	s_add_u32 s0, s4, s0
	s_addc_u32 s1, s6, s1
	s_add_u32 s0, s0, s17
	v_subb_co_u32_e32 v11, vcc, v12, v11, vcc
	s_addc_u32 s1, s1, s16
	v_lshl_add_u64 v[6:7], v[0:1], 0, v[6:7]
	v_lshl_add_u64 v[8:9], v[10:11], 0, v[8:9]
	v_mov_b32_e32 v10, s1
	v_sub_co_u32_e32 v6, vcc, s0, v6
	s_mul_i32 s30, s30, s3
	s_nop 0
	v_subb_co_u32_e32 v7, vcc, v10, v7, vcc
	v_lshl_add_u64 v[6:7], s[8:9], 0, v[6:7]
	v_lshl_add_u64 v[4:5], v[6:7], 0, v[4:5]
	v_mad_u64_u32 v[4:5], s[0:1], v8, s12, v[4:5]
	v_mul_lo_u32 v6, v8, s13
	v_mul_lo_u32 v7, v9, s12
	v_add3_u32 v5, v7, v5, v6
	global_load_ubyte v6, v[4:5], off
	v_mov_b32_e32 v7, s3
	v_mad_u64_u32 v[2:3], s[0:1], s5, v7, v[2:3]
	v_mov_b32_e32 v4, s10
	v_mov_b32_e32 v5, s11
	v_add_u32_e32 v3, s30, v3
	v_mul_lo_u32 v7, v3, s2
	v_mul_lo_u32 v8, v2, s7
	v_mad_u64_u32 v[2:3], s[0:1], v2, s2, v[4:5]
	v_add3_u32 v3, v7, v3, v8
	v_lshl_add_u64 v[0:1], v[2:3], 0, v[0:1]
	s_waitcnt vmcnt(0)
	global_store_byte v[0:1], v6, off
.LBB0_5:
	s_endpgm
.LBB0_6:
                                        ; implicit-def: $vgpr2_vgpr3
	s_branch .LBB0_3
	.section	.rodata,"a",@progbits
	.p2align	6, 0x0
	.amdhsa_kernel _ZN2at6native12_GLOBAL__N_127reflection_pad2d_out_kernelIhEEvPKT_PS3_lliiiiiii
		.amdhsa_group_segment_fixed_size 0
		.amdhsa_private_segment_fixed_size 0
		.amdhsa_kernarg_size 320
		.amdhsa_user_sgpr_count 2
		.amdhsa_user_sgpr_dispatch_ptr 0
		.amdhsa_user_sgpr_queue_ptr 0
		.amdhsa_user_sgpr_kernarg_segment_ptr 1
		.amdhsa_user_sgpr_dispatch_id 0
		.amdhsa_user_sgpr_kernarg_preload_length 0
		.amdhsa_user_sgpr_kernarg_preload_offset 0
		.amdhsa_user_sgpr_private_segment_size 0
		.amdhsa_uses_dynamic_stack 0
		.amdhsa_enable_private_segment 0
		.amdhsa_system_sgpr_workgroup_id_x 1
		.amdhsa_system_sgpr_workgroup_id_y 1
		.amdhsa_system_sgpr_workgroup_id_z 1
		.amdhsa_system_sgpr_workgroup_info 0
		.amdhsa_system_vgpr_workitem_id 0
		.amdhsa_next_free_vgpr 13
		.amdhsa_next_free_sgpr 41
		.amdhsa_accum_offset 16
		.amdhsa_reserve_vcc 1
		.amdhsa_float_round_mode_32 0
		.amdhsa_float_round_mode_16_64 0
		.amdhsa_float_denorm_mode_32 3
		.amdhsa_float_denorm_mode_16_64 3
		.amdhsa_dx10_clamp 1
		.amdhsa_ieee_mode 1
		.amdhsa_fp16_overflow 0
		.amdhsa_tg_split 0
		.amdhsa_exception_fp_ieee_invalid_op 0
		.amdhsa_exception_fp_denorm_src 0
		.amdhsa_exception_fp_ieee_div_zero 0
		.amdhsa_exception_fp_ieee_overflow 0
		.amdhsa_exception_fp_ieee_underflow 0
		.amdhsa_exception_fp_ieee_inexact 0
		.amdhsa_exception_int_div_zero 0
	.end_amdhsa_kernel
	.section	.text._ZN2at6native12_GLOBAL__N_127reflection_pad2d_out_kernelIhEEvPKT_PS3_lliiiiiii,"axG",@progbits,_ZN2at6native12_GLOBAL__N_127reflection_pad2d_out_kernelIhEEvPKT_PS3_lliiiiiii,comdat
.Lfunc_end0:
	.size	_ZN2at6native12_GLOBAL__N_127reflection_pad2d_out_kernelIhEEvPKT_PS3_lliiiiiii, .Lfunc_end0-_ZN2at6native12_GLOBAL__N_127reflection_pad2d_out_kernelIhEEvPKT_PS3_lliiiiiii
                                        ; -- End function
	.set _ZN2at6native12_GLOBAL__N_127reflection_pad2d_out_kernelIhEEvPKT_PS3_lliiiiiii.num_vgpr, 13
	.set _ZN2at6native12_GLOBAL__N_127reflection_pad2d_out_kernelIhEEvPKT_PS3_lliiiiiii.num_agpr, 0
	.set _ZN2at6native12_GLOBAL__N_127reflection_pad2d_out_kernelIhEEvPKT_PS3_lliiiiiii.numbered_sgpr, 41
	.set _ZN2at6native12_GLOBAL__N_127reflection_pad2d_out_kernelIhEEvPKT_PS3_lliiiiiii.num_named_barrier, 0
	.set _ZN2at6native12_GLOBAL__N_127reflection_pad2d_out_kernelIhEEvPKT_PS3_lliiiiiii.private_seg_size, 0
	.set _ZN2at6native12_GLOBAL__N_127reflection_pad2d_out_kernelIhEEvPKT_PS3_lliiiiiii.uses_vcc, 1
	.set _ZN2at6native12_GLOBAL__N_127reflection_pad2d_out_kernelIhEEvPKT_PS3_lliiiiiii.uses_flat_scratch, 0
	.set _ZN2at6native12_GLOBAL__N_127reflection_pad2d_out_kernelIhEEvPKT_PS3_lliiiiiii.has_dyn_sized_stack, 0
	.set _ZN2at6native12_GLOBAL__N_127reflection_pad2d_out_kernelIhEEvPKT_PS3_lliiiiiii.has_recursion, 0
	.set _ZN2at6native12_GLOBAL__N_127reflection_pad2d_out_kernelIhEEvPKT_PS3_lliiiiiii.has_indirect_call, 0
	.section	.AMDGPU.csdata,"",@progbits
; Kernel info:
; codeLenInByte = 1500
; TotalNumSgprs: 47
; NumVgprs: 13
; NumAgprs: 0
; TotalNumVgprs: 13
; ScratchSize: 0
; MemoryBound: 0
; FloatMode: 240
; IeeeMode: 1
; LDSByteSize: 0 bytes/workgroup (compile time only)
; SGPRBlocks: 5
; VGPRBlocks: 1
; NumSGPRsForWavesPerEU: 47
; NumVGPRsForWavesPerEU: 13
; AccumOffset: 16
; Occupancy: 8
; WaveLimiterHint : 0
; COMPUTE_PGM_RSRC2:SCRATCH_EN: 0
; COMPUTE_PGM_RSRC2:USER_SGPR: 2
; COMPUTE_PGM_RSRC2:TRAP_HANDLER: 0
; COMPUTE_PGM_RSRC2:TGID_X_EN: 1
; COMPUTE_PGM_RSRC2:TGID_Y_EN: 1
; COMPUTE_PGM_RSRC2:TGID_Z_EN: 1
; COMPUTE_PGM_RSRC2:TIDIG_COMP_CNT: 0
; COMPUTE_PGM_RSRC3_GFX90A:ACCUM_OFFSET: 3
; COMPUTE_PGM_RSRC3_GFX90A:TG_SPLIT: 0
	.section	.text._ZN2at6native12_GLOBAL__N_127reflection_pad2d_out_kernelIaEEvPKT_PS3_lliiiiiii,"axG",@progbits,_ZN2at6native12_GLOBAL__N_127reflection_pad2d_out_kernelIaEEvPKT_PS3_lliiiiiii,comdat
	.globl	_ZN2at6native12_GLOBAL__N_127reflection_pad2d_out_kernelIaEEvPKT_PS3_lliiiiiii ; -- Begin function _ZN2at6native12_GLOBAL__N_127reflection_pad2d_out_kernelIaEEvPKT_PS3_lliiiiiii
	.p2align	8
	.type	_ZN2at6native12_GLOBAL__N_127reflection_pad2d_out_kernelIaEEvPKT_PS3_lliiiiiii,@function
_ZN2at6native12_GLOBAL__N_127reflection_pad2d_out_kernelIaEEvPKT_PS3_lliiiiiii: ; @_ZN2at6native12_GLOBAL__N_127reflection_pad2d_out_kernelIaEEvPKT_PS3_lliiiiiii
; %bb.0:
	s_load_dword s5, s[0:1], 0x4c
	s_load_dwordx4 s[16:19], s[0:1], 0x20
	s_load_dwordx8 s[8:15], s[0:1], 0x0
	v_mov_b32_e32 v1, 0
	s_waitcnt lgkmcnt(0)
	s_and_b32 s5, s5, 0xffff
	s_ashr_i32 s21, s18, 31
	s_add_u32 s31, s12, s18
	s_mul_i32 s2, s2, s5
	s_addc_u32 s33, s13, s21
	s_ashr_i32 s5, s19, 31
	v_add_u32_e32 v0, s2, v0
	s_add_u32 s2, s31, s19
	s_addc_u32 s7, s33, s5
	s_ashr_i32 s23, s16, 31
	s_add_u32 s34, s14, s16
	s_addc_u32 s35, s15, s23
	s_ashr_i32 s6, s17, 31
	s_add_u32 s5, s34, s17
	s_addc_u32 s30, s35, s6
	s_mov_b32 s22, s16
	s_mul_i32 s6, s2, s30
	s_mul_hi_u32 s16, s2, s5
	s_add_i32 s6, s16, s6
	s_mul_i32 s16, s7, s5
	s_add_i32 s17, s6, s16
	s_mul_i32 s16, s2, s5
	v_cmp_gt_i64_e32 vcc, s[16:17], v[0:1]
	s_and_saveexec_b64 s[16:17], vcc
	s_cbranch_execz .LBB1_5
; %bb.1:
	s_mov_b32 s20, s18
	s_load_dwordx4 s[16:19], s[0:1], 0x30
	s_mov_b32 s6, 0
	s_cmp_lg_u64 s[6:7], 0
	s_cbranch_scc0 .LBB1_6
; %bb.2:
	s_ashr_i32 s24, s7, 31
	s_add_u32 s0, s2, s24
	s_mov_b32 s25, s24
	s_addc_u32 s1, s7, s24
	s_xor_b64 s[28:29], s[0:1], s[24:25]
	v_cvt_f32_u32_e32 v2, s28
	v_cvt_f32_u32_e32 v3, s29
	s_sub_u32 s6, 0, s28
	s_waitcnt lgkmcnt(0)
	s_subb_u32 s19, 0, s29
	v_lshl_add_u64 v[4:5], v[0:1], 0, 0
	v_fmamk_f32 v2, v3, 0x4f800000, v2
	v_rcp_f32_e32 v2, v2
	s_nop 0
	v_mul_f32_e32 v2, 0x5f7ffffc, v2
	v_mul_f32_e32 v3, 0x2f800000, v2
	v_trunc_f32_e32 v3, v3
	v_fmamk_f32 v2, v3, 0xcf800000, v2
	v_cvt_u32_f32_e32 v3, v3
	v_cvt_u32_f32_e32 v2, v2
	v_readfirstlane_b32 s25, v3
	v_readfirstlane_b32 s0, v2
	s_mul_i32 s1, s6, s25
	s_mul_hi_u32 s37, s6, s0
	s_mul_i32 s36, s19, s0
	s_add_i32 s1, s37, s1
	s_add_i32 s1, s1, s36
	s_mul_i32 s38, s6, s0
	s_mul_i32 s37, s0, s1
	s_mul_hi_u32 s39, s0, s38
	s_mul_hi_u32 s36, s0, s1
	s_add_u32 s37, s39, s37
	s_addc_u32 s36, 0, s36
	s_mul_hi_u32 s40, s25, s38
	s_mul_i32 s38, s25, s38
	s_add_u32 s37, s37, s38
	s_mul_hi_u32 s39, s25, s1
	s_addc_u32 s36, s36, s40
	s_addc_u32 s37, s39, 0
	s_mul_i32 s1, s25, s1
	s_add_u32 s1, s36, s1
	s_addc_u32 s36, 0, s37
	s_add_u32 s37, s0, s1
	s_cselect_b64 s[0:1], -1, 0
	s_cmp_lg_u64 s[0:1], 0
	s_addc_u32 s25, s25, s36
	s_mul_i32 s0, s6, s25
	s_mul_hi_u32 s1, s6, s37
	s_add_i32 s0, s1, s0
	s_mul_i32 s19, s19, s37
	s_add_i32 s0, s0, s19
	s_mul_i32 s6, s6, s37
	s_mul_hi_u32 s19, s25, s6
	s_mul_i32 s36, s25, s6
	s_mul_i32 s39, s37, s0
	s_mul_hi_u32 s6, s37, s6
	s_mul_hi_u32 s38, s37, s0
	s_add_u32 s6, s6, s39
	s_addc_u32 s38, 0, s38
	s_add_u32 s6, s6, s36
	s_mul_hi_u32 s1, s25, s0
	s_addc_u32 s6, s38, s19
	s_addc_u32 s1, s1, 0
	s_mul_i32 s0, s25, s0
	s_add_u32 s0, s6, s0
	s_addc_u32 s6, 0, s1
	s_add_u32 s19, s37, s0
	s_cselect_b64 s[0:1], -1, 0
	s_cmp_lg_u64 s[0:1], 0
	s_addc_u32 s6, s25, s6
	v_mov_b32_e32 v3, 0
	v_mad_u64_u32 v[6:7], s[0:1], v4, s6, 0
	v_mul_hi_u32 v2, v4, s19
	v_lshl_add_u64 v[6:7], v[2:3], 0, v[6:7]
	v_mad_u64_u32 v[10:11], s[0:1], v5, s19, 0
	v_add_co_u32_e32 v1, vcc, v6, v10
	v_mad_u64_u32 v[8:9], s[0:1], v5, s6, 0
	s_nop 0
	v_addc_co_u32_e32 v2, vcc, v7, v11, vcc
	s_nop 1
	v_addc_co_u32_e32 v9, vcc, 0, v9, vcc
	v_lshl_add_u64 v[2:3], v[2:3], 0, v[8:9]
	v_mul_lo_u32 v1, s29, v2
	v_mul_lo_u32 v8, s28, v3
	v_mad_u64_u32 v[6:7], s[0:1], s28, v2, 0
	v_add3_u32 v1, v7, v8, v1
	v_sub_u32_e32 v7, v5, v1
	v_mov_b32_e32 v8, s29
	v_sub_co_u32_e32 v4, vcc, v4, v6
	s_nop 1
	v_subb_co_u32_e64 v6, s[0:1], v7, v8, vcc
	v_subrev_co_u32_e64 v7, s[0:1], s28, v4
	v_subb_co_u32_e32 v1, vcc, v5, v1, vcc
	s_nop 0
	v_subbrev_co_u32_e64 v6, s[0:1], 0, v6, s[0:1]
	v_cmp_le_u32_e64 s[0:1], s29, v6
	v_cmp_le_u32_e32 vcc, s29, v1
	s_nop 0
	v_cndmask_b32_e64 v8, 0, -1, s[0:1]
	v_cmp_le_u32_e64 s[0:1], s28, v7
	v_cndmask_b32_e64 v5, 0, -1, vcc
	v_cmp_le_u32_e32 vcc, s28, v4
	v_cndmask_b32_e64 v7, 0, -1, s[0:1]
	v_cmp_eq_u32_e64 s[0:1], s29, v6
	v_cndmask_b32_e64 v4, 0, -1, vcc
	v_cmp_eq_u32_e32 vcc, s29, v1
	v_cndmask_b32_e64 v10, v8, v7, s[0:1]
	v_lshl_add_u64 v[6:7], v[2:3], 0, 2
	v_lshl_add_u64 v[8:9], v[2:3], 0, 1
	v_cmp_ne_u32_e64 s[0:1], 0, v10
	v_cndmask_b32_e32 v1, v5, v4, vcc
	v_cmp_ne_u32_e32 vcc, 0, v1
	v_cndmask_b32_e64 v7, v9, v7, s[0:1]
	s_nop 0
	v_cndmask_b32_e32 v1, v3, v7, vcc
	v_cndmask_b32_e64 v3, v8, v6, s[0:1]
	v_cndmask_b32_e32 v2, v2, v3, vcc
	v_xor_b32_e32 v2, s24, v2
	v_xor_b32_e32 v1, s24, v1
	v_mov_b32_e32 v3, s24
	v_subrev_co_u32_e32 v2, vcc, s24, v2
	s_nop 1
	v_subb_co_u32_e32 v3, vcc, v1, v3, vcc
	s_cbranch_execnz .LBB1_4
.LBB1_3:
	v_cvt_f32_u32_e32 v1, s2
	s_sub_i32 s0, 0, s2
	v_rcp_iflag_f32_e32 v1, v1
	s_nop 0
	v_mul_f32_e32 v1, 0x4f7ffffe, v1
	v_cvt_u32_f32_e32 v1, v1
	v_mul_lo_u32 v2, s0, v1
	v_mul_hi_u32 v2, v1, v2
	v_add_u32_e32 v1, v1, v2
	v_mul_hi_u32 v1, v0, v1
	v_mul_lo_u32 v2, v1, s2
	v_sub_u32_e32 v2, v0, v2
	v_add_u32_e32 v3, 1, v1
	v_subrev_u32_e32 v4, s2, v2
	v_cmp_le_u32_e32 vcc, s2, v2
	s_nop 1
	v_cndmask_b32_e32 v2, v2, v4, vcc
	v_cndmask_b32_e32 v1, v1, v3, vcc
	v_add_u32_e32 v3, 1, v1
	v_cmp_le_u32_e32 vcc, s2, v2
	s_nop 1
	v_cndmask_b32_e32 v2, v1, v3, vcc
	v_mov_b32_e32 v3, 0
.LBB1_4:
	s_sub_u32 s0, 0, s22
	s_subb_u32 s1, 0, s23
	s_sub_u32 s24, 0, s20
	s_subb_u32 s25, 0, s21
	s_waitcnt lgkmcnt(0)
	s_add_i32 s4, s17, s4
	s_add_i32 s3, s16, s3
	s_mul_i32 s4, s4, s18
	s_add_i32 s3, s3, s4
	s_mul_i32 s4, s15, s3
	s_mul_hi_u32 s6, s14, s3
	s_add_i32 s6, s6, s4
	s_mul_i32 s4, s14, s3
	v_mul_lo_u32 v1, v3, s2
	v_mul_lo_u32 v6, v2, s7
	v_mad_u64_u32 v[4:5], s[14:15], v2, s2, 0
	v_add3_u32 v1, v5, v6, v1
	v_sub_co_u32_e32 v0, vcc, v0, v4
	v_mov_b32_e32 v4, s21
	s_nop 0
	v_subb_co_u32_e32 v1, vcc, 0, v1, vcc
	v_subrev_co_u32_e32 v5, vcc, s20, v0
	v_cmp_gt_i64_e64 s[14:15], s[24:25], 0
	s_nop 0
	v_subb_co_u32_e32 v4, vcc, v1, v4, vcc
	v_ashrrev_i32_e32 v6, 31, v4
	v_xor_b32_e32 v7, v4, v6
	v_xor_b32_e32 v4, v5, v6
	v_sub_co_u32_e32 v4, vcc, v4, v6
	s_and_b64 s[14:15], s[14:15], exec
	s_nop 0
	v_subb_co_u32_e32 v5, vcc, v7, v6, vcc
	v_mov_b32_e32 v7, s33
	v_subrev_co_u32_e32 v6, vcc, s31, v0
	v_cmp_gt_i64_e64 s[14:15], s[0:1], 0
	s_nop 0
	v_subb_co_u32_e32 v7, vcc, v1, v7, vcc
	v_lshl_add_u64 v[6:7], v[6:7], 0, 1
	v_ashrrev_i32_e32 v8, 31, v7
	v_xor_b32_e32 v6, v6, v8
	v_xor_b32_e32 v7, v7, v8
	v_sub_co_u32_e32 v6, vcc, v6, v8
	s_cselect_b32 s16, s25, 0
	s_nop 0
	v_subb_co_u32_e32 v7, vcc, v7, v8, vcc
	s_cselect_b32 s17, s24, 0
	s_and_b64 s[14:15], s[14:15], exec
	v_mov_b32_e32 v8, s23
	v_subrev_co_u32_e32 v9, vcc, s22, v2
	s_cselect_b32 s18, s1, 0
	s_cselect_b32 s19, s0, 0
	v_cmp_gt_i64_e64 s[0:1], s[20:21], 0
	v_subb_co_u32_e32 v8, vcc, v3, v8, vcc
	s_and_b64 s[0:1], s[0:1], exec
	v_cmp_gt_i64_e64 s[14:15], s[22:23], 0
	v_ashrrev_i32_e32 v10, 31, v8
	s_cselect_b32 s1, s21, 0
	s_cselect_b32 s0, s20, 0
	s_and_b64 s[14:15], s[14:15], exec
	v_xor_b32_e32 v11, v8, v10
	v_xor_b32_e32 v8, v9, v10
	s_cselect_b32 s15, s23, 0
	s_cselect_b32 s14, s22, 0
	v_sub_co_u32_e32 v8, vcc, v8, v10
	s_not_b64 s[0:1], s[0:1]
	s_nop 0
	v_subb_co_u32_e32 v9, vcc, v11, v10, vcc
	s_not_b64 s[14:15], s[14:15]
	v_mov_b32_e32 v11, s35
	v_subrev_co_u32_e32 v10, vcc, s34, v2
	s_add_u32 s22, s34, s22
	s_nop 0
	v_subb_co_u32_e32 v11, vcc, v3, v11, vcc
	s_addc_u32 s23, s35, s23
	v_lshl_add_u64 v[10:11], v[10:11], 0, 1
	s_add_u32 s14, s22, s14
	v_ashrrev_i32_e32 v12, 31, v11
	s_addc_u32 s15, s23, s15
	v_xor_b32_e32 v10, v10, v12
	s_add_u32 s14, s14, s19
	v_xor_b32_e32 v11, v11, v12
	v_sub_co_u32_e32 v10, vcc, v10, v12
	s_addc_u32 s15, s15, s18
	s_nop 0
	v_subb_co_u32_e32 v11, vcc, v11, v12, vcc
	s_add_u32 s4, s14, s4
	s_addc_u32 s6, s15, s6
	v_lshl_add_u64 v[10:11], v[2:3], 0, v[10:11]
	v_sub_co_u32_e32 v10, vcc, s4, v10
	s_add_u32 s4, s31, s20
	v_mov_b32_e32 v12, s6
	s_addc_u32 s6, s33, s21
	s_add_u32 s0, s4, s0
	s_addc_u32 s1, s6, s1
	s_add_u32 s0, s0, s17
	v_subb_co_u32_e32 v11, vcc, v12, v11, vcc
	s_addc_u32 s1, s1, s16
	v_lshl_add_u64 v[6:7], v[0:1], 0, v[6:7]
	v_lshl_add_u64 v[8:9], v[10:11], 0, v[8:9]
	v_mov_b32_e32 v10, s1
	v_sub_co_u32_e32 v6, vcc, s0, v6
	s_mul_i32 s30, s30, s3
	s_nop 0
	v_subb_co_u32_e32 v7, vcc, v10, v7, vcc
	v_lshl_add_u64 v[6:7], s[8:9], 0, v[6:7]
	v_lshl_add_u64 v[4:5], v[6:7], 0, v[4:5]
	v_mad_u64_u32 v[4:5], s[0:1], v8, s12, v[4:5]
	v_mul_lo_u32 v6, v8, s13
	v_mul_lo_u32 v7, v9, s12
	v_add3_u32 v5, v7, v5, v6
	global_load_ubyte v6, v[4:5], off
	v_mov_b32_e32 v7, s3
	v_mad_u64_u32 v[2:3], s[0:1], s5, v7, v[2:3]
	v_mov_b32_e32 v4, s10
	v_mov_b32_e32 v5, s11
	v_add_u32_e32 v3, s30, v3
	v_mul_lo_u32 v7, v3, s2
	v_mul_lo_u32 v8, v2, s7
	v_mad_u64_u32 v[2:3], s[0:1], v2, s2, v[4:5]
	v_add3_u32 v3, v7, v3, v8
	v_lshl_add_u64 v[0:1], v[2:3], 0, v[0:1]
	s_waitcnt vmcnt(0)
	global_store_byte v[0:1], v6, off
.LBB1_5:
	s_endpgm
.LBB1_6:
                                        ; implicit-def: $vgpr2_vgpr3
	s_branch .LBB1_3
	.section	.rodata,"a",@progbits
	.p2align	6, 0x0
	.amdhsa_kernel _ZN2at6native12_GLOBAL__N_127reflection_pad2d_out_kernelIaEEvPKT_PS3_lliiiiiii
		.amdhsa_group_segment_fixed_size 0
		.amdhsa_private_segment_fixed_size 0
		.amdhsa_kernarg_size 320
		.amdhsa_user_sgpr_count 2
		.amdhsa_user_sgpr_dispatch_ptr 0
		.amdhsa_user_sgpr_queue_ptr 0
		.amdhsa_user_sgpr_kernarg_segment_ptr 1
		.amdhsa_user_sgpr_dispatch_id 0
		.amdhsa_user_sgpr_kernarg_preload_length 0
		.amdhsa_user_sgpr_kernarg_preload_offset 0
		.amdhsa_user_sgpr_private_segment_size 0
		.amdhsa_uses_dynamic_stack 0
		.amdhsa_enable_private_segment 0
		.amdhsa_system_sgpr_workgroup_id_x 1
		.amdhsa_system_sgpr_workgroup_id_y 1
		.amdhsa_system_sgpr_workgroup_id_z 1
		.amdhsa_system_sgpr_workgroup_info 0
		.amdhsa_system_vgpr_workitem_id 0
		.amdhsa_next_free_vgpr 13
		.amdhsa_next_free_sgpr 41
		.amdhsa_accum_offset 16
		.amdhsa_reserve_vcc 1
		.amdhsa_float_round_mode_32 0
		.amdhsa_float_round_mode_16_64 0
		.amdhsa_float_denorm_mode_32 3
		.amdhsa_float_denorm_mode_16_64 3
		.amdhsa_dx10_clamp 1
		.amdhsa_ieee_mode 1
		.amdhsa_fp16_overflow 0
		.amdhsa_tg_split 0
		.amdhsa_exception_fp_ieee_invalid_op 0
		.amdhsa_exception_fp_denorm_src 0
		.amdhsa_exception_fp_ieee_div_zero 0
		.amdhsa_exception_fp_ieee_overflow 0
		.amdhsa_exception_fp_ieee_underflow 0
		.amdhsa_exception_fp_ieee_inexact 0
		.amdhsa_exception_int_div_zero 0
	.end_amdhsa_kernel
	.section	.text._ZN2at6native12_GLOBAL__N_127reflection_pad2d_out_kernelIaEEvPKT_PS3_lliiiiiii,"axG",@progbits,_ZN2at6native12_GLOBAL__N_127reflection_pad2d_out_kernelIaEEvPKT_PS3_lliiiiiii,comdat
.Lfunc_end1:
	.size	_ZN2at6native12_GLOBAL__N_127reflection_pad2d_out_kernelIaEEvPKT_PS3_lliiiiiii, .Lfunc_end1-_ZN2at6native12_GLOBAL__N_127reflection_pad2d_out_kernelIaEEvPKT_PS3_lliiiiiii
                                        ; -- End function
	.set _ZN2at6native12_GLOBAL__N_127reflection_pad2d_out_kernelIaEEvPKT_PS3_lliiiiiii.num_vgpr, 13
	.set _ZN2at6native12_GLOBAL__N_127reflection_pad2d_out_kernelIaEEvPKT_PS3_lliiiiiii.num_agpr, 0
	.set _ZN2at6native12_GLOBAL__N_127reflection_pad2d_out_kernelIaEEvPKT_PS3_lliiiiiii.numbered_sgpr, 41
	.set _ZN2at6native12_GLOBAL__N_127reflection_pad2d_out_kernelIaEEvPKT_PS3_lliiiiiii.num_named_barrier, 0
	.set _ZN2at6native12_GLOBAL__N_127reflection_pad2d_out_kernelIaEEvPKT_PS3_lliiiiiii.private_seg_size, 0
	.set _ZN2at6native12_GLOBAL__N_127reflection_pad2d_out_kernelIaEEvPKT_PS3_lliiiiiii.uses_vcc, 1
	.set _ZN2at6native12_GLOBAL__N_127reflection_pad2d_out_kernelIaEEvPKT_PS3_lliiiiiii.uses_flat_scratch, 0
	.set _ZN2at6native12_GLOBAL__N_127reflection_pad2d_out_kernelIaEEvPKT_PS3_lliiiiiii.has_dyn_sized_stack, 0
	.set _ZN2at6native12_GLOBAL__N_127reflection_pad2d_out_kernelIaEEvPKT_PS3_lliiiiiii.has_recursion, 0
	.set _ZN2at6native12_GLOBAL__N_127reflection_pad2d_out_kernelIaEEvPKT_PS3_lliiiiiii.has_indirect_call, 0
	.section	.AMDGPU.csdata,"",@progbits
; Kernel info:
; codeLenInByte = 1500
; TotalNumSgprs: 47
; NumVgprs: 13
; NumAgprs: 0
; TotalNumVgprs: 13
; ScratchSize: 0
; MemoryBound: 0
; FloatMode: 240
; IeeeMode: 1
; LDSByteSize: 0 bytes/workgroup (compile time only)
; SGPRBlocks: 5
; VGPRBlocks: 1
; NumSGPRsForWavesPerEU: 47
; NumVGPRsForWavesPerEU: 13
; AccumOffset: 16
; Occupancy: 8
; WaveLimiterHint : 0
; COMPUTE_PGM_RSRC2:SCRATCH_EN: 0
; COMPUTE_PGM_RSRC2:USER_SGPR: 2
; COMPUTE_PGM_RSRC2:TRAP_HANDLER: 0
; COMPUTE_PGM_RSRC2:TGID_X_EN: 1
; COMPUTE_PGM_RSRC2:TGID_Y_EN: 1
; COMPUTE_PGM_RSRC2:TGID_Z_EN: 1
; COMPUTE_PGM_RSRC2:TIDIG_COMP_CNT: 0
; COMPUTE_PGM_RSRC3_GFX90A:ACCUM_OFFSET: 3
; COMPUTE_PGM_RSRC3_GFX90A:TG_SPLIT: 0
	.section	.text._ZN2at6native12_GLOBAL__N_127reflection_pad2d_out_kernelIiEEvPKT_PS3_lliiiiiii,"axG",@progbits,_ZN2at6native12_GLOBAL__N_127reflection_pad2d_out_kernelIiEEvPKT_PS3_lliiiiiii,comdat
	.globl	_ZN2at6native12_GLOBAL__N_127reflection_pad2d_out_kernelIiEEvPKT_PS3_lliiiiiii ; -- Begin function _ZN2at6native12_GLOBAL__N_127reflection_pad2d_out_kernelIiEEvPKT_PS3_lliiiiiii
	.p2align	8
	.type	_ZN2at6native12_GLOBAL__N_127reflection_pad2d_out_kernelIiEEvPKT_PS3_lliiiiiii,@function
_ZN2at6native12_GLOBAL__N_127reflection_pad2d_out_kernelIiEEvPKT_PS3_lliiiiiii: ; @_ZN2at6native12_GLOBAL__N_127reflection_pad2d_out_kernelIiEEvPKT_PS3_lliiiiiii
; %bb.0:
	s_load_dword s5, s[0:1], 0x4c
	s_load_dwordx4 s[16:19], s[0:1], 0x20
	s_load_dwordx8 s[8:15], s[0:1], 0x0
	v_mov_b32_e32 v1, 0
	s_waitcnt lgkmcnt(0)
	s_and_b32 s5, s5, 0xffff
	s_ashr_i32 s21, s18, 31
	s_add_u32 s31, s12, s18
	s_mul_i32 s2, s2, s5
	s_addc_u32 s33, s13, s21
	s_ashr_i32 s5, s19, 31
	v_add_u32_e32 v0, s2, v0
	s_add_u32 s2, s31, s19
	s_addc_u32 s7, s33, s5
	s_ashr_i32 s23, s16, 31
	s_add_u32 s34, s14, s16
	s_addc_u32 s35, s15, s23
	s_ashr_i32 s6, s17, 31
	s_add_u32 s5, s34, s17
	s_addc_u32 s30, s35, s6
	s_mov_b32 s22, s16
	s_mul_i32 s6, s2, s30
	s_mul_hi_u32 s16, s2, s5
	s_add_i32 s6, s16, s6
	s_mul_i32 s16, s7, s5
	s_add_i32 s17, s6, s16
	s_mul_i32 s16, s2, s5
	v_cmp_gt_i64_e32 vcc, s[16:17], v[0:1]
	s_and_saveexec_b64 s[16:17], vcc
	s_cbranch_execz .LBB2_5
; %bb.1:
	s_mov_b32 s20, s18
	s_load_dwordx4 s[16:19], s[0:1], 0x30
	s_mov_b32 s6, 0
	s_cmp_lg_u64 s[6:7], 0
	s_cbranch_scc0 .LBB2_6
; %bb.2:
	s_ashr_i32 s24, s7, 31
	s_add_u32 s0, s2, s24
	s_mov_b32 s25, s24
	s_addc_u32 s1, s7, s24
	s_xor_b64 s[28:29], s[0:1], s[24:25]
	v_cvt_f32_u32_e32 v2, s28
	v_cvt_f32_u32_e32 v3, s29
	s_sub_u32 s6, 0, s28
	s_waitcnt lgkmcnt(0)
	s_subb_u32 s19, 0, s29
	v_lshl_add_u64 v[4:5], v[0:1], 0, 0
	v_fmamk_f32 v2, v3, 0x4f800000, v2
	v_rcp_f32_e32 v2, v2
	s_nop 0
	v_mul_f32_e32 v2, 0x5f7ffffc, v2
	v_mul_f32_e32 v3, 0x2f800000, v2
	v_trunc_f32_e32 v3, v3
	v_fmamk_f32 v2, v3, 0xcf800000, v2
	v_cvt_u32_f32_e32 v3, v3
	v_cvt_u32_f32_e32 v2, v2
	v_readfirstlane_b32 s25, v3
	v_readfirstlane_b32 s0, v2
	s_mul_i32 s1, s6, s25
	s_mul_hi_u32 s37, s6, s0
	s_mul_i32 s36, s19, s0
	s_add_i32 s1, s37, s1
	s_add_i32 s1, s1, s36
	s_mul_i32 s38, s6, s0
	s_mul_i32 s37, s0, s1
	s_mul_hi_u32 s39, s0, s38
	s_mul_hi_u32 s36, s0, s1
	s_add_u32 s37, s39, s37
	s_addc_u32 s36, 0, s36
	s_mul_hi_u32 s40, s25, s38
	s_mul_i32 s38, s25, s38
	s_add_u32 s37, s37, s38
	s_mul_hi_u32 s39, s25, s1
	s_addc_u32 s36, s36, s40
	s_addc_u32 s37, s39, 0
	s_mul_i32 s1, s25, s1
	s_add_u32 s1, s36, s1
	s_addc_u32 s36, 0, s37
	s_add_u32 s37, s0, s1
	s_cselect_b64 s[0:1], -1, 0
	s_cmp_lg_u64 s[0:1], 0
	s_addc_u32 s25, s25, s36
	s_mul_i32 s0, s6, s25
	s_mul_hi_u32 s1, s6, s37
	s_add_i32 s0, s1, s0
	s_mul_i32 s19, s19, s37
	s_add_i32 s0, s0, s19
	s_mul_i32 s6, s6, s37
	s_mul_hi_u32 s19, s25, s6
	s_mul_i32 s36, s25, s6
	s_mul_i32 s39, s37, s0
	s_mul_hi_u32 s6, s37, s6
	s_mul_hi_u32 s38, s37, s0
	s_add_u32 s6, s6, s39
	s_addc_u32 s38, 0, s38
	s_add_u32 s6, s6, s36
	s_mul_hi_u32 s1, s25, s0
	s_addc_u32 s6, s38, s19
	s_addc_u32 s1, s1, 0
	s_mul_i32 s0, s25, s0
	s_add_u32 s0, s6, s0
	s_addc_u32 s6, 0, s1
	s_add_u32 s19, s37, s0
	s_cselect_b64 s[0:1], -1, 0
	s_cmp_lg_u64 s[0:1], 0
	s_addc_u32 s6, s25, s6
	v_mov_b32_e32 v3, 0
	v_mad_u64_u32 v[6:7], s[0:1], v4, s6, 0
	v_mul_hi_u32 v2, v4, s19
	v_lshl_add_u64 v[6:7], v[2:3], 0, v[6:7]
	v_mad_u64_u32 v[10:11], s[0:1], v5, s19, 0
	v_add_co_u32_e32 v1, vcc, v6, v10
	v_mad_u64_u32 v[8:9], s[0:1], v5, s6, 0
	s_nop 0
	v_addc_co_u32_e32 v2, vcc, v7, v11, vcc
	s_nop 1
	v_addc_co_u32_e32 v9, vcc, 0, v9, vcc
	v_lshl_add_u64 v[2:3], v[2:3], 0, v[8:9]
	v_mul_lo_u32 v1, s29, v2
	v_mul_lo_u32 v8, s28, v3
	v_mad_u64_u32 v[6:7], s[0:1], s28, v2, 0
	v_add3_u32 v1, v7, v8, v1
	v_sub_u32_e32 v7, v5, v1
	v_mov_b32_e32 v8, s29
	v_sub_co_u32_e32 v4, vcc, v4, v6
	s_nop 1
	v_subb_co_u32_e64 v6, s[0:1], v7, v8, vcc
	v_subrev_co_u32_e64 v7, s[0:1], s28, v4
	v_subb_co_u32_e32 v1, vcc, v5, v1, vcc
	s_nop 0
	v_subbrev_co_u32_e64 v6, s[0:1], 0, v6, s[0:1]
	v_cmp_le_u32_e64 s[0:1], s29, v6
	v_cmp_le_u32_e32 vcc, s29, v1
	s_nop 0
	v_cndmask_b32_e64 v8, 0, -1, s[0:1]
	v_cmp_le_u32_e64 s[0:1], s28, v7
	v_cndmask_b32_e64 v5, 0, -1, vcc
	v_cmp_le_u32_e32 vcc, s28, v4
	v_cndmask_b32_e64 v7, 0, -1, s[0:1]
	v_cmp_eq_u32_e64 s[0:1], s29, v6
	v_cndmask_b32_e64 v4, 0, -1, vcc
	v_cmp_eq_u32_e32 vcc, s29, v1
	v_cndmask_b32_e64 v10, v8, v7, s[0:1]
	v_lshl_add_u64 v[6:7], v[2:3], 0, 2
	v_lshl_add_u64 v[8:9], v[2:3], 0, 1
	v_cmp_ne_u32_e64 s[0:1], 0, v10
	v_cndmask_b32_e32 v1, v5, v4, vcc
	v_cmp_ne_u32_e32 vcc, 0, v1
	v_cndmask_b32_e64 v7, v9, v7, s[0:1]
	s_nop 0
	v_cndmask_b32_e32 v1, v3, v7, vcc
	v_cndmask_b32_e64 v3, v8, v6, s[0:1]
	v_cndmask_b32_e32 v2, v2, v3, vcc
	v_xor_b32_e32 v2, s24, v2
	v_xor_b32_e32 v1, s24, v1
	v_mov_b32_e32 v3, s24
	v_subrev_co_u32_e32 v2, vcc, s24, v2
	s_nop 1
	v_subb_co_u32_e32 v3, vcc, v1, v3, vcc
	s_cbranch_execnz .LBB2_4
.LBB2_3:
	v_cvt_f32_u32_e32 v1, s2
	s_sub_i32 s0, 0, s2
	v_rcp_iflag_f32_e32 v1, v1
	s_nop 0
	v_mul_f32_e32 v1, 0x4f7ffffe, v1
	v_cvt_u32_f32_e32 v1, v1
	v_mul_lo_u32 v2, s0, v1
	v_mul_hi_u32 v2, v1, v2
	v_add_u32_e32 v1, v1, v2
	v_mul_hi_u32 v1, v0, v1
	v_mul_lo_u32 v2, v1, s2
	v_sub_u32_e32 v2, v0, v2
	v_add_u32_e32 v3, 1, v1
	v_subrev_u32_e32 v4, s2, v2
	v_cmp_le_u32_e32 vcc, s2, v2
	s_nop 1
	v_cndmask_b32_e32 v2, v2, v4, vcc
	v_cndmask_b32_e32 v1, v1, v3, vcc
	v_add_u32_e32 v3, 1, v1
	v_cmp_le_u32_e32 vcc, s2, v2
	s_nop 1
	v_cndmask_b32_e32 v2, v1, v3, vcc
	v_mov_b32_e32 v3, 0
.LBB2_4:
	v_mov_b32_e32 v4, s8
	v_mov_b32_e32 v5, s9
	v_mul_lo_u32 v1, v3, s2
	v_mul_lo_u32 v8, v2, s7
	v_mad_u64_u32 v[6:7], s[8:9], v2, s2, 0
	v_add3_u32 v1, v7, v8, v1
	v_sub_co_u32_e32 v0, vcc, v0, v6
	v_mov_b32_e32 v6, s21
	s_nop 0
	v_subb_co_u32_e32 v1, vcc, 0, v1, vcc
	v_subrev_co_u32_e32 v7, vcc, s20, v0
	s_sub_u32 s0, 0, s22
	s_nop 0
	v_subb_co_u32_e32 v6, vcc, v1, v6, vcc
	v_ashrrev_i32_e32 v8, 31, v6
	v_xor_b32_e32 v9, v6, v8
	v_xor_b32_e32 v6, v7, v8
	s_subb_u32 s1, 0, s23
	v_sub_co_u32_e32 v6, vcc, v6, v8
	s_sub_u32 s24, 0, s20
	s_nop 0
	v_subb_co_u32_e32 v7, vcc, v9, v8, vcc
	s_subb_u32 s25, 0, s21
	s_waitcnt lgkmcnt(0)
	s_add_i32 s4, s17, s4
	v_mov_b32_e32 v9, s33
	v_subrev_co_u32_e32 v8, vcc, s31, v0
	s_add_i32 s3, s16, s3
	s_mul_i32 s4, s4, s18
	v_subb_co_u32_e32 v9, vcc, v1, v9, vcc
	s_add_i32 s3, s3, s4
	v_lshl_add_u64 v[8:9], v[8:9], 0, 1
	s_mul_i32 s4, s15, s3
	s_mul_hi_u32 s6, s14, s3
	v_ashrrev_i32_e32 v10, 31, v9
	s_add_i32 s6, s6, s4
	v_cmp_gt_i64_e64 s[8:9], s[24:25], 0
	v_xor_b32_e32 v8, v8, v10
	s_and_b64 s[8:9], s[8:9], exec
	v_xor_b32_e32 v9, v9, v10
	v_sub_co_u32_e32 v8, vcc, v8, v10
	v_cmp_gt_i64_e64 s[8:9], s[0:1], 0
	s_nop 0
	v_subb_co_u32_e32 v9, vcc, v9, v10, vcc
	s_mul_i32 s4, s14, s3
	s_cselect_b32 s14, s25, 0
	s_cselect_b32 s15, s24, 0
	s_and_b64 s[8:9], s[8:9], exec
	v_mov_b32_e32 v10, s23
	v_subrev_co_u32_e32 v11, vcc, s22, v2
	s_cselect_b32 s16, s1, 0
	s_cselect_b32 s17, s0, 0
	v_cmp_gt_i64_e64 s[0:1], s[20:21], 0
	v_subb_co_u32_e32 v10, vcc, v3, v10, vcc
	s_and_b64 s[0:1], s[0:1], exec
	v_cmp_gt_i64_e64 s[8:9], s[22:23], 0
	v_ashrrev_i32_e32 v12, 31, v10
	s_cselect_b32 s1, s21, 0
	s_cselect_b32 s0, s20, 0
	s_and_b64 s[8:9], s[8:9], exec
	v_xor_b32_e32 v13, v10, v12
	v_xor_b32_e32 v10, v11, v12
	s_cselect_b32 s9, s23, 0
	s_cselect_b32 s8, s22, 0
	v_sub_co_u32_e32 v10, vcc, v10, v12
	s_not_b64 s[8:9], s[8:9]
	s_nop 0
	v_subb_co_u32_e32 v11, vcc, v13, v12, vcc
	v_mov_b32_e32 v13, s35
	v_subrev_co_u32_e32 v12, vcc, s34, v2
	s_add_u32 s18, s34, s22
	s_nop 0
	v_subb_co_u32_e32 v13, vcc, v3, v13, vcc
	s_addc_u32 s19, s35, s23
	v_lshl_add_u64 v[12:13], v[12:13], 0, 1
	s_add_u32 s8, s18, s8
	v_ashrrev_i32_e32 v14, 31, v13
	s_addc_u32 s9, s19, s9
	v_xor_b32_e32 v12, v12, v14
	s_add_u32 s8, s8, s17
	v_xor_b32_e32 v13, v13, v14
	v_sub_co_u32_e32 v12, vcc, v12, v14
	s_addc_u32 s9, s9, s16
	s_nop 0
	v_subb_co_u32_e32 v13, vcc, v13, v14, vcc
	s_add_u32 s4, s8, s4
	s_addc_u32 s6, s9, s6
	v_lshl_add_u64 v[12:13], v[2:3], 0, v[12:13]
	v_sub_co_u32_e32 v12, vcc, s4, v12
	s_add_u32 s4, s31, s20
	v_mov_b32_e32 v14, s6
	s_addc_u32 s6, s33, s21
	s_not_b64 s[0:1], s[0:1]
	s_add_u32 s0, s4, s0
	v_subb_co_u32_e32 v13, vcc, v14, v13, vcc
	s_addc_u32 s1, s6, s1
	v_lshl_add_u64 v[10:11], v[12:13], 0, v[10:11]
	s_add_u32 s0, s0, s15
	v_mul_lo_u32 v12, v11, s12
	v_mul_lo_u32 v13, v10, s13
	v_mad_u64_u32 v[10:11], s[8:9], v10, s12, 0
	v_lshl_add_u64 v[8:9], v[0:1], 0, v[8:9]
	s_addc_u32 s1, s1, s14
	v_add3_u32 v11, v11, v13, v12
	v_mov_b32_e32 v12, s1
	v_sub_co_u32_e32 v8, vcc, s0, v8
	s_mul_i32 s30, s30, s3
	s_nop 0
	v_subb_co_u32_e32 v9, vcc, v12, v9, vcc
	v_lshl_add_u64 v[4:5], v[8:9], 2, v[4:5]
	v_lshl_add_u64 v[4:5], v[6:7], 2, v[4:5]
	;; [unrolled: 1-line block ×3, first 2 shown]
	global_load_dword v6, v[4:5], off
	v_mov_b32_e32 v7, s3
	v_mad_u64_u32 v[2:3], s[0:1], s5, v7, v[2:3]
	v_add_u32_e32 v3, s30, v3
	v_mul_lo_u32 v7, v3, s2
	v_mul_lo_u32 v8, v2, s7
	v_mad_u64_u32 v[2:3], s[0:1], v2, s2, 0
	v_mov_b32_e32 v4, s10
	v_mov_b32_e32 v5, s11
	v_add3_u32 v3, v3, v8, v7
	v_lshl_add_u64 v[2:3], v[2:3], 2, v[4:5]
	v_lshl_add_u64 v[0:1], v[0:1], 2, v[2:3]
	s_waitcnt vmcnt(0)
	global_store_dword v[0:1], v6, off
.LBB2_5:
	s_endpgm
.LBB2_6:
                                        ; implicit-def: $vgpr2_vgpr3
	s_branch .LBB2_3
	.section	.rodata,"a",@progbits
	.p2align	6, 0x0
	.amdhsa_kernel _ZN2at6native12_GLOBAL__N_127reflection_pad2d_out_kernelIiEEvPKT_PS3_lliiiiiii
		.amdhsa_group_segment_fixed_size 0
		.amdhsa_private_segment_fixed_size 0
		.amdhsa_kernarg_size 320
		.amdhsa_user_sgpr_count 2
		.amdhsa_user_sgpr_dispatch_ptr 0
		.amdhsa_user_sgpr_queue_ptr 0
		.amdhsa_user_sgpr_kernarg_segment_ptr 1
		.amdhsa_user_sgpr_dispatch_id 0
		.amdhsa_user_sgpr_kernarg_preload_length 0
		.amdhsa_user_sgpr_kernarg_preload_offset 0
		.amdhsa_user_sgpr_private_segment_size 0
		.amdhsa_uses_dynamic_stack 0
		.amdhsa_enable_private_segment 0
		.amdhsa_system_sgpr_workgroup_id_x 1
		.amdhsa_system_sgpr_workgroup_id_y 1
		.amdhsa_system_sgpr_workgroup_id_z 1
		.amdhsa_system_sgpr_workgroup_info 0
		.amdhsa_system_vgpr_workitem_id 0
		.amdhsa_next_free_vgpr 15
		.amdhsa_next_free_sgpr 41
		.amdhsa_accum_offset 16
		.amdhsa_reserve_vcc 1
		.amdhsa_float_round_mode_32 0
		.amdhsa_float_round_mode_16_64 0
		.amdhsa_float_denorm_mode_32 3
		.amdhsa_float_denorm_mode_16_64 3
		.amdhsa_dx10_clamp 1
		.amdhsa_ieee_mode 1
		.amdhsa_fp16_overflow 0
		.amdhsa_tg_split 0
		.amdhsa_exception_fp_ieee_invalid_op 0
		.amdhsa_exception_fp_denorm_src 0
		.amdhsa_exception_fp_ieee_div_zero 0
		.amdhsa_exception_fp_ieee_overflow 0
		.amdhsa_exception_fp_ieee_underflow 0
		.amdhsa_exception_fp_ieee_inexact 0
		.amdhsa_exception_int_div_zero 0
	.end_amdhsa_kernel
	.section	.text._ZN2at6native12_GLOBAL__N_127reflection_pad2d_out_kernelIiEEvPKT_PS3_lliiiiiii,"axG",@progbits,_ZN2at6native12_GLOBAL__N_127reflection_pad2d_out_kernelIiEEvPKT_PS3_lliiiiiii,comdat
.Lfunc_end2:
	.size	_ZN2at6native12_GLOBAL__N_127reflection_pad2d_out_kernelIiEEvPKT_PS3_lliiiiiii, .Lfunc_end2-_ZN2at6native12_GLOBAL__N_127reflection_pad2d_out_kernelIiEEvPKT_PS3_lliiiiiii
                                        ; -- End function
	.set _ZN2at6native12_GLOBAL__N_127reflection_pad2d_out_kernelIiEEvPKT_PS3_lliiiiiii.num_vgpr, 15
	.set _ZN2at6native12_GLOBAL__N_127reflection_pad2d_out_kernelIiEEvPKT_PS3_lliiiiiii.num_agpr, 0
	.set _ZN2at6native12_GLOBAL__N_127reflection_pad2d_out_kernelIiEEvPKT_PS3_lliiiiiii.numbered_sgpr, 41
	.set _ZN2at6native12_GLOBAL__N_127reflection_pad2d_out_kernelIiEEvPKT_PS3_lliiiiiii.num_named_barrier, 0
	.set _ZN2at6native12_GLOBAL__N_127reflection_pad2d_out_kernelIiEEvPKT_PS3_lliiiiiii.private_seg_size, 0
	.set _ZN2at6native12_GLOBAL__N_127reflection_pad2d_out_kernelIiEEvPKT_PS3_lliiiiiii.uses_vcc, 1
	.set _ZN2at6native12_GLOBAL__N_127reflection_pad2d_out_kernelIiEEvPKT_PS3_lliiiiiii.uses_flat_scratch, 0
	.set _ZN2at6native12_GLOBAL__N_127reflection_pad2d_out_kernelIiEEvPKT_PS3_lliiiiiii.has_dyn_sized_stack, 0
	.set _ZN2at6native12_GLOBAL__N_127reflection_pad2d_out_kernelIiEEvPKT_PS3_lliiiiiii.has_recursion, 0
	.set _ZN2at6native12_GLOBAL__N_127reflection_pad2d_out_kernelIiEEvPKT_PS3_lliiiiiii.has_indirect_call, 0
	.section	.AMDGPU.csdata,"",@progbits
; Kernel info:
; codeLenInByte = 1520
; TotalNumSgprs: 47
; NumVgprs: 15
; NumAgprs: 0
; TotalNumVgprs: 15
; ScratchSize: 0
; MemoryBound: 0
; FloatMode: 240
; IeeeMode: 1
; LDSByteSize: 0 bytes/workgroup (compile time only)
; SGPRBlocks: 5
; VGPRBlocks: 1
; NumSGPRsForWavesPerEU: 47
; NumVGPRsForWavesPerEU: 15
; AccumOffset: 16
; Occupancy: 8
; WaveLimiterHint : 0
; COMPUTE_PGM_RSRC2:SCRATCH_EN: 0
; COMPUTE_PGM_RSRC2:USER_SGPR: 2
; COMPUTE_PGM_RSRC2:TRAP_HANDLER: 0
; COMPUTE_PGM_RSRC2:TGID_X_EN: 1
; COMPUTE_PGM_RSRC2:TGID_Y_EN: 1
; COMPUTE_PGM_RSRC2:TGID_Z_EN: 1
; COMPUTE_PGM_RSRC2:TIDIG_COMP_CNT: 0
; COMPUTE_PGM_RSRC3_GFX90A:ACCUM_OFFSET: 3
; COMPUTE_PGM_RSRC3_GFX90A:TG_SPLIT: 0
	.section	.text._ZN2at6native12_GLOBAL__N_127reflection_pad2d_out_kernelIlEEvPKT_PS3_lliiiiiii,"axG",@progbits,_ZN2at6native12_GLOBAL__N_127reflection_pad2d_out_kernelIlEEvPKT_PS3_lliiiiiii,comdat
	.globl	_ZN2at6native12_GLOBAL__N_127reflection_pad2d_out_kernelIlEEvPKT_PS3_lliiiiiii ; -- Begin function _ZN2at6native12_GLOBAL__N_127reflection_pad2d_out_kernelIlEEvPKT_PS3_lliiiiiii
	.p2align	8
	.type	_ZN2at6native12_GLOBAL__N_127reflection_pad2d_out_kernelIlEEvPKT_PS3_lliiiiiii,@function
_ZN2at6native12_GLOBAL__N_127reflection_pad2d_out_kernelIlEEvPKT_PS3_lliiiiiii: ; @_ZN2at6native12_GLOBAL__N_127reflection_pad2d_out_kernelIlEEvPKT_PS3_lliiiiiii
; %bb.0:
	s_load_dword s5, s[0:1], 0x4c
	s_load_dwordx4 s[16:19], s[0:1], 0x20
	s_load_dwordx8 s[8:15], s[0:1], 0x0
	v_mov_b32_e32 v1, 0
	s_waitcnt lgkmcnt(0)
	s_and_b32 s5, s5, 0xffff
	s_ashr_i32 s21, s18, 31
	s_add_u32 s31, s12, s18
	s_mul_i32 s2, s2, s5
	s_addc_u32 s33, s13, s21
	s_ashr_i32 s5, s19, 31
	v_add_u32_e32 v0, s2, v0
	s_add_u32 s2, s31, s19
	s_addc_u32 s7, s33, s5
	s_ashr_i32 s23, s16, 31
	s_add_u32 s34, s14, s16
	s_addc_u32 s35, s15, s23
	s_ashr_i32 s6, s17, 31
	s_add_u32 s5, s34, s17
	s_addc_u32 s30, s35, s6
	s_mov_b32 s22, s16
	s_mul_i32 s6, s2, s30
	s_mul_hi_u32 s16, s2, s5
	s_add_i32 s6, s16, s6
	s_mul_i32 s16, s7, s5
	s_add_i32 s17, s6, s16
	s_mul_i32 s16, s2, s5
	v_cmp_gt_i64_e32 vcc, s[16:17], v[0:1]
	s_and_saveexec_b64 s[16:17], vcc
	s_cbranch_execz .LBB3_5
; %bb.1:
	s_mov_b32 s20, s18
	s_load_dwordx4 s[16:19], s[0:1], 0x30
	s_mov_b32 s6, 0
	s_cmp_lg_u64 s[6:7], 0
	s_cbranch_scc0 .LBB3_6
; %bb.2:
	s_ashr_i32 s24, s7, 31
	s_add_u32 s0, s2, s24
	s_mov_b32 s25, s24
	s_addc_u32 s1, s7, s24
	s_xor_b64 s[28:29], s[0:1], s[24:25]
	v_cvt_f32_u32_e32 v2, s28
	v_cvt_f32_u32_e32 v3, s29
	s_sub_u32 s6, 0, s28
	s_waitcnt lgkmcnt(0)
	s_subb_u32 s19, 0, s29
	v_lshl_add_u64 v[4:5], v[0:1], 0, 0
	v_fmamk_f32 v2, v3, 0x4f800000, v2
	v_rcp_f32_e32 v2, v2
	s_nop 0
	v_mul_f32_e32 v2, 0x5f7ffffc, v2
	v_mul_f32_e32 v3, 0x2f800000, v2
	v_trunc_f32_e32 v3, v3
	v_fmamk_f32 v2, v3, 0xcf800000, v2
	v_cvt_u32_f32_e32 v3, v3
	v_cvt_u32_f32_e32 v2, v2
	v_readfirstlane_b32 s25, v3
	v_readfirstlane_b32 s0, v2
	s_mul_i32 s1, s6, s25
	s_mul_hi_u32 s37, s6, s0
	s_mul_i32 s36, s19, s0
	s_add_i32 s1, s37, s1
	s_add_i32 s1, s1, s36
	s_mul_i32 s38, s6, s0
	s_mul_i32 s37, s0, s1
	s_mul_hi_u32 s39, s0, s38
	s_mul_hi_u32 s36, s0, s1
	s_add_u32 s37, s39, s37
	s_addc_u32 s36, 0, s36
	s_mul_hi_u32 s40, s25, s38
	s_mul_i32 s38, s25, s38
	s_add_u32 s37, s37, s38
	s_mul_hi_u32 s39, s25, s1
	s_addc_u32 s36, s36, s40
	s_addc_u32 s37, s39, 0
	s_mul_i32 s1, s25, s1
	s_add_u32 s1, s36, s1
	s_addc_u32 s36, 0, s37
	s_add_u32 s37, s0, s1
	s_cselect_b64 s[0:1], -1, 0
	s_cmp_lg_u64 s[0:1], 0
	s_addc_u32 s25, s25, s36
	s_mul_i32 s0, s6, s25
	s_mul_hi_u32 s1, s6, s37
	s_add_i32 s0, s1, s0
	s_mul_i32 s19, s19, s37
	s_add_i32 s0, s0, s19
	s_mul_i32 s6, s6, s37
	s_mul_hi_u32 s19, s25, s6
	s_mul_i32 s36, s25, s6
	s_mul_i32 s39, s37, s0
	s_mul_hi_u32 s6, s37, s6
	s_mul_hi_u32 s38, s37, s0
	s_add_u32 s6, s6, s39
	s_addc_u32 s38, 0, s38
	s_add_u32 s6, s6, s36
	s_mul_hi_u32 s1, s25, s0
	s_addc_u32 s6, s38, s19
	s_addc_u32 s1, s1, 0
	s_mul_i32 s0, s25, s0
	s_add_u32 s0, s6, s0
	s_addc_u32 s6, 0, s1
	s_add_u32 s19, s37, s0
	s_cselect_b64 s[0:1], -1, 0
	s_cmp_lg_u64 s[0:1], 0
	s_addc_u32 s6, s25, s6
	v_mov_b32_e32 v3, 0
	v_mad_u64_u32 v[6:7], s[0:1], v4, s6, 0
	v_mul_hi_u32 v2, v4, s19
	v_lshl_add_u64 v[6:7], v[2:3], 0, v[6:7]
	v_mad_u64_u32 v[10:11], s[0:1], v5, s19, 0
	v_add_co_u32_e32 v1, vcc, v6, v10
	v_mad_u64_u32 v[8:9], s[0:1], v5, s6, 0
	s_nop 0
	v_addc_co_u32_e32 v2, vcc, v7, v11, vcc
	s_nop 1
	v_addc_co_u32_e32 v9, vcc, 0, v9, vcc
	v_lshl_add_u64 v[2:3], v[2:3], 0, v[8:9]
	v_mul_lo_u32 v1, s29, v2
	v_mul_lo_u32 v8, s28, v3
	v_mad_u64_u32 v[6:7], s[0:1], s28, v2, 0
	v_add3_u32 v1, v7, v8, v1
	v_sub_u32_e32 v7, v5, v1
	v_mov_b32_e32 v8, s29
	v_sub_co_u32_e32 v4, vcc, v4, v6
	s_nop 1
	v_subb_co_u32_e64 v6, s[0:1], v7, v8, vcc
	v_subrev_co_u32_e64 v7, s[0:1], s28, v4
	v_subb_co_u32_e32 v1, vcc, v5, v1, vcc
	s_nop 0
	v_subbrev_co_u32_e64 v6, s[0:1], 0, v6, s[0:1]
	v_cmp_le_u32_e64 s[0:1], s29, v6
	v_cmp_le_u32_e32 vcc, s29, v1
	s_nop 0
	v_cndmask_b32_e64 v8, 0, -1, s[0:1]
	v_cmp_le_u32_e64 s[0:1], s28, v7
	v_cndmask_b32_e64 v5, 0, -1, vcc
	v_cmp_le_u32_e32 vcc, s28, v4
	v_cndmask_b32_e64 v7, 0, -1, s[0:1]
	v_cmp_eq_u32_e64 s[0:1], s29, v6
	v_cndmask_b32_e64 v4, 0, -1, vcc
	v_cmp_eq_u32_e32 vcc, s29, v1
	v_cndmask_b32_e64 v10, v8, v7, s[0:1]
	v_lshl_add_u64 v[6:7], v[2:3], 0, 2
	v_lshl_add_u64 v[8:9], v[2:3], 0, 1
	v_cmp_ne_u32_e64 s[0:1], 0, v10
	v_cndmask_b32_e32 v1, v5, v4, vcc
	v_cmp_ne_u32_e32 vcc, 0, v1
	v_cndmask_b32_e64 v7, v9, v7, s[0:1]
	s_nop 0
	v_cndmask_b32_e32 v1, v3, v7, vcc
	v_cndmask_b32_e64 v3, v8, v6, s[0:1]
	v_cndmask_b32_e32 v2, v2, v3, vcc
	v_xor_b32_e32 v2, s24, v2
	v_xor_b32_e32 v1, s24, v1
	v_mov_b32_e32 v3, s24
	v_subrev_co_u32_e32 v2, vcc, s24, v2
	s_nop 1
	v_subb_co_u32_e32 v3, vcc, v1, v3, vcc
	s_cbranch_execnz .LBB3_4
.LBB3_3:
	v_cvt_f32_u32_e32 v1, s2
	s_sub_i32 s0, 0, s2
	v_rcp_iflag_f32_e32 v1, v1
	s_nop 0
	v_mul_f32_e32 v1, 0x4f7ffffe, v1
	v_cvt_u32_f32_e32 v1, v1
	v_mul_lo_u32 v2, s0, v1
	v_mul_hi_u32 v2, v1, v2
	v_add_u32_e32 v1, v1, v2
	v_mul_hi_u32 v1, v0, v1
	v_mul_lo_u32 v2, v1, s2
	v_sub_u32_e32 v2, v0, v2
	v_add_u32_e32 v3, 1, v1
	v_subrev_u32_e32 v4, s2, v2
	v_cmp_le_u32_e32 vcc, s2, v2
	s_nop 1
	v_cndmask_b32_e32 v2, v2, v4, vcc
	v_cndmask_b32_e32 v1, v1, v3, vcc
	v_add_u32_e32 v3, 1, v1
	v_cmp_le_u32_e32 vcc, s2, v2
	s_nop 1
	v_cndmask_b32_e32 v2, v1, v3, vcc
	v_mov_b32_e32 v3, 0
.LBB3_4:
	v_mov_b32_e32 v4, s8
	v_mov_b32_e32 v5, s9
	v_mul_lo_u32 v1, v3, s2
	v_mul_lo_u32 v8, v2, s7
	v_mad_u64_u32 v[6:7], s[8:9], v2, s2, 0
	v_add3_u32 v1, v7, v8, v1
	v_sub_co_u32_e32 v0, vcc, v0, v6
	v_mov_b32_e32 v6, s21
	s_nop 0
	v_subb_co_u32_e32 v1, vcc, 0, v1, vcc
	v_subrev_co_u32_e32 v7, vcc, s20, v0
	s_sub_u32 s0, 0, s22
	s_nop 0
	v_subb_co_u32_e32 v6, vcc, v1, v6, vcc
	v_ashrrev_i32_e32 v8, 31, v6
	v_xor_b32_e32 v9, v6, v8
	v_xor_b32_e32 v6, v7, v8
	s_subb_u32 s1, 0, s23
	v_sub_co_u32_e32 v6, vcc, v6, v8
	s_sub_u32 s24, 0, s20
	s_nop 0
	v_subb_co_u32_e32 v7, vcc, v9, v8, vcc
	s_subb_u32 s25, 0, s21
	s_waitcnt lgkmcnt(0)
	s_add_i32 s4, s17, s4
	v_mov_b32_e32 v9, s33
	v_subrev_co_u32_e32 v8, vcc, s31, v0
	s_add_i32 s3, s16, s3
	s_mul_i32 s4, s4, s18
	v_subb_co_u32_e32 v9, vcc, v1, v9, vcc
	s_add_i32 s3, s3, s4
	v_lshl_add_u64 v[8:9], v[8:9], 0, 1
	s_mul_i32 s4, s15, s3
	s_mul_hi_u32 s6, s14, s3
	v_ashrrev_i32_e32 v10, 31, v9
	s_add_i32 s6, s6, s4
	v_cmp_gt_i64_e64 s[8:9], s[24:25], 0
	v_xor_b32_e32 v8, v8, v10
	s_and_b64 s[8:9], s[8:9], exec
	v_xor_b32_e32 v9, v9, v10
	v_sub_co_u32_e32 v8, vcc, v8, v10
	v_cmp_gt_i64_e64 s[8:9], s[0:1], 0
	s_nop 0
	v_subb_co_u32_e32 v9, vcc, v9, v10, vcc
	s_mul_i32 s4, s14, s3
	s_cselect_b32 s14, s25, 0
	s_cselect_b32 s15, s24, 0
	s_and_b64 s[8:9], s[8:9], exec
	v_mov_b32_e32 v10, s23
	v_subrev_co_u32_e32 v11, vcc, s22, v2
	s_cselect_b32 s16, s1, 0
	s_cselect_b32 s17, s0, 0
	v_cmp_gt_i64_e64 s[0:1], s[20:21], 0
	v_subb_co_u32_e32 v10, vcc, v3, v10, vcc
	s_and_b64 s[0:1], s[0:1], exec
	v_cmp_gt_i64_e64 s[8:9], s[22:23], 0
	v_ashrrev_i32_e32 v12, 31, v10
	s_cselect_b32 s1, s21, 0
	s_cselect_b32 s0, s20, 0
	s_and_b64 s[8:9], s[8:9], exec
	v_xor_b32_e32 v13, v10, v12
	v_xor_b32_e32 v10, v11, v12
	s_cselect_b32 s9, s23, 0
	s_cselect_b32 s8, s22, 0
	v_sub_co_u32_e32 v10, vcc, v10, v12
	s_not_b64 s[8:9], s[8:9]
	s_nop 0
	v_subb_co_u32_e32 v11, vcc, v13, v12, vcc
	v_mov_b32_e32 v13, s35
	v_subrev_co_u32_e32 v12, vcc, s34, v2
	s_add_u32 s18, s34, s22
	s_nop 0
	v_subb_co_u32_e32 v13, vcc, v3, v13, vcc
	s_addc_u32 s19, s35, s23
	v_lshl_add_u64 v[12:13], v[12:13], 0, 1
	s_add_u32 s8, s18, s8
	v_ashrrev_i32_e32 v14, 31, v13
	s_addc_u32 s9, s19, s9
	v_xor_b32_e32 v12, v12, v14
	s_add_u32 s8, s8, s17
	v_xor_b32_e32 v13, v13, v14
	v_sub_co_u32_e32 v12, vcc, v12, v14
	s_addc_u32 s9, s9, s16
	s_nop 0
	v_subb_co_u32_e32 v13, vcc, v13, v14, vcc
	s_add_u32 s4, s8, s4
	s_addc_u32 s6, s9, s6
	v_lshl_add_u64 v[12:13], v[2:3], 0, v[12:13]
	v_sub_co_u32_e32 v12, vcc, s4, v12
	s_add_u32 s4, s31, s20
	v_mov_b32_e32 v14, s6
	s_addc_u32 s6, s33, s21
	s_not_b64 s[0:1], s[0:1]
	s_add_u32 s0, s4, s0
	v_subb_co_u32_e32 v13, vcc, v14, v13, vcc
	s_addc_u32 s1, s6, s1
	v_lshl_add_u64 v[10:11], v[12:13], 0, v[10:11]
	s_add_u32 s0, s0, s15
	v_mul_lo_u32 v12, v11, s12
	v_mul_lo_u32 v13, v10, s13
	v_mad_u64_u32 v[10:11], s[8:9], v10, s12, 0
	v_lshl_add_u64 v[8:9], v[0:1], 0, v[8:9]
	s_addc_u32 s1, s1, s14
	v_add3_u32 v11, v11, v13, v12
	v_mov_b32_e32 v12, s1
	v_sub_co_u32_e32 v8, vcc, s0, v8
	s_mul_i32 s30, s30, s3
	s_nop 0
	v_subb_co_u32_e32 v9, vcc, v12, v9, vcc
	v_lshl_add_u64 v[4:5], v[8:9], 3, v[4:5]
	v_lshl_add_u64 v[4:5], v[6:7], 3, v[4:5]
	;; [unrolled: 1-line block ×3, first 2 shown]
	global_load_dwordx2 v[4:5], v[4:5], off
	v_mov_b32_e32 v8, s3
	v_mad_u64_u32 v[2:3], s[0:1], s5, v8, v[2:3]
	v_add_u32_e32 v3, s30, v3
	v_mul_lo_u32 v8, v3, s2
	v_mul_lo_u32 v9, v2, s7
	v_mad_u64_u32 v[2:3], s[0:1], v2, s2, 0
	v_mov_b32_e32 v6, s10
	v_mov_b32_e32 v7, s11
	v_add3_u32 v3, v3, v9, v8
	v_lshl_add_u64 v[2:3], v[2:3], 3, v[6:7]
	v_lshl_add_u64 v[0:1], v[0:1], 3, v[2:3]
	s_waitcnt vmcnt(0)
	global_store_dwordx2 v[0:1], v[4:5], off
.LBB3_5:
	s_endpgm
.LBB3_6:
                                        ; implicit-def: $vgpr2_vgpr3
	s_branch .LBB3_3
	.section	.rodata,"a",@progbits
	.p2align	6, 0x0
	.amdhsa_kernel _ZN2at6native12_GLOBAL__N_127reflection_pad2d_out_kernelIlEEvPKT_PS3_lliiiiiii
		.amdhsa_group_segment_fixed_size 0
		.amdhsa_private_segment_fixed_size 0
		.amdhsa_kernarg_size 320
		.amdhsa_user_sgpr_count 2
		.amdhsa_user_sgpr_dispatch_ptr 0
		.amdhsa_user_sgpr_queue_ptr 0
		.amdhsa_user_sgpr_kernarg_segment_ptr 1
		.amdhsa_user_sgpr_dispatch_id 0
		.amdhsa_user_sgpr_kernarg_preload_length 0
		.amdhsa_user_sgpr_kernarg_preload_offset 0
		.amdhsa_user_sgpr_private_segment_size 0
		.amdhsa_uses_dynamic_stack 0
		.amdhsa_enable_private_segment 0
		.amdhsa_system_sgpr_workgroup_id_x 1
		.amdhsa_system_sgpr_workgroup_id_y 1
		.amdhsa_system_sgpr_workgroup_id_z 1
		.amdhsa_system_sgpr_workgroup_info 0
		.amdhsa_system_vgpr_workitem_id 0
		.amdhsa_next_free_vgpr 15
		.amdhsa_next_free_sgpr 41
		.amdhsa_accum_offset 16
		.amdhsa_reserve_vcc 1
		.amdhsa_float_round_mode_32 0
		.amdhsa_float_round_mode_16_64 0
		.amdhsa_float_denorm_mode_32 3
		.amdhsa_float_denorm_mode_16_64 3
		.amdhsa_dx10_clamp 1
		.amdhsa_ieee_mode 1
		.amdhsa_fp16_overflow 0
		.amdhsa_tg_split 0
		.amdhsa_exception_fp_ieee_invalid_op 0
		.amdhsa_exception_fp_denorm_src 0
		.amdhsa_exception_fp_ieee_div_zero 0
		.amdhsa_exception_fp_ieee_overflow 0
		.amdhsa_exception_fp_ieee_underflow 0
		.amdhsa_exception_fp_ieee_inexact 0
		.amdhsa_exception_int_div_zero 0
	.end_amdhsa_kernel
	.section	.text._ZN2at6native12_GLOBAL__N_127reflection_pad2d_out_kernelIlEEvPKT_PS3_lliiiiiii,"axG",@progbits,_ZN2at6native12_GLOBAL__N_127reflection_pad2d_out_kernelIlEEvPKT_PS3_lliiiiiii,comdat
.Lfunc_end3:
	.size	_ZN2at6native12_GLOBAL__N_127reflection_pad2d_out_kernelIlEEvPKT_PS3_lliiiiiii, .Lfunc_end3-_ZN2at6native12_GLOBAL__N_127reflection_pad2d_out_kernelIlEEvPKT_PS3_lliiiiiii
                                        ; -- End function
	.set _ZN2at6native12_GLOBAL__N_127reflection_pad2d_out_kernelIlEEvPKT_PS3_lliiiiiii.num_vgpr, 15
	.set _ZN2at6native12_GLOBAL__N_127reflection_pad2d_out_kernelIlEEvPKT_PS3_lliiiiiii.num_agpr, 0
	.set _ZN2at6native12_GLOBAL__N_127reflection_pad2d_out_kernelIlEEvPKT_PS3_lliiiiiii.numbered_sgpr, 41
	.set _ZN2at6native12_GLOBAL__N_127reflection_pad2d_out_kernelIlEEvPKT_PS3_lliiiiiii.num_named_barrier, 0
	.set _ZN2at6native12_GLOBAL__N_127reflection_pad2d_out_kernelIlEEvPKT_PS3_lliiiiiii.private_seg_size, 0
	.set _ZN2at6native12_GLOBAL__N_127reflection_pad2d_out_kernelIlEEvPKT_PS3_lliiiiiii.uses_vcc, 1
	.set _ZN2at6native12_GLOBAL__N_127reflection_pad2d_out_kernelIlEEvPKT_PS3_lliiiiiii.uses_flat_scratch, 0
	.set _ZN2at6native12_GLOBAL__N_127reflection_pad2d_out_kernelIlEEvPKT_PS3_lliiiiiii.has_dyn_sized_stack, 0
	.set _ZN2at6native12_GLOBAL__N_127reflection_pad2d_out_kernelIlEEvPKT_PS3_lliiiiiii.has_recursion, 0
	.set _ZN2at6native12_GLOBAL__N_127reflection_pad2d_out_kernelIlEEvPKT_PS3_lliiiiiii.has_indirect_call, 0
	.section	.AMDGPU.csdata,"",@progbits
; Kernel info:
; codeLenInByte = 1520
; TotalNumSgprs: 47
; NumVgprs: 15
; NumAgprs: 0
; TotalNumVgprs: 15
; ScratchSize: 0
; MemoryBound: 0
; FloatMode: 240
; IeeeMode: 1
; LDSByteSize: 0 bytes/workgroup (compile time only)
; SGPRBlocks: 5
; VGPRBlocks: 1
; NumSGPRsForWavesPerEU: 47
; NumVGPRsForWavesPerEU: 15
; AccumOffset: 16
; Occupancy: 8
; WaveLimiterHint : 0
; COMPUTE_PGM_RSRC2:SCRATCH_EN: 0
; COMPUTE_PGM_RSRC2:USER_SGPR: 2
; COMPUTE_PGM_RSRC2:TRAP_HANDLER: 0
; COMPUTE_PGM_RSRC2:TGID_X_EN: 1
; COMPUTE_PGM_RSRC2:TGID_Y_EN: 1
; COMPUTE_PGM_RSRC2:TGID_Z_EN: 1
; COMPUTE_PGM_RSRC2:TIDIG_COMP_CNT: 0
; COMPUTE_PGM_RSRC3_GFX90A:ACCUM_OFFSET: 3
; COMPUTE_PGM_RSRC3_GFX90A:TG_SPLIT: 0
	.section	.text._ZN2at6native12_GLOBAL__N_127reflection_pad2d_out_kernelIsEEvPKT_PS3_lliiiiiii,"axG",@progbits,_ZN2at6native12_GLOBAL__N_127reflection_pad2d_out_kernelIsEEvPKT_PS3_lliiiiiii,comdat
	.globl	_ZN2at6native12_GLOBAL__N_127reflection_pad2d_out_kernelIsEEvPKT_PS3_lliiiiiii ; -- Begin function _ZN2at6native12_GLOBAL__N_127reflection_pad2d_out_kernelIsEEvPKT_PS3_lliiiiiii
	.p2align	8
	.type	_ZN2at6native12_GLOBAL__N_127reflection_pad2d_out_kernelIsEEvPKT_PS3_lliiiiiii,@function
_ZN2at6native12_GLOBAL__N_127reflection_pad2d_out_kernelIsEEvPKT_PS3_lliiiiiii: ; @_ZN2at6native12_GLOBAL__N_127reflection_pad2d_out_kernelIsEEvPKT_PS3_lliiiiiii
; %bb.0:
	s_load_dword s5, s[0:1], 0x4c
	s_load_dwordx4 s[16:19], s[0:1], 0x20
	s_load_dwordx8 s[8:15], s[0:1], 0x0
	v_mov_b32_e32 v1, 0
	s_waitcnt lgkmcnt(0)
	s_and_b32 s5, s5, 0xffff
	s_ashr_i32 s21, s18, 31
	s_add_u32 s31, s12, s18
	s_mul_i32 s2, s2, s5
	s_addc_u32 s33, s13, s21
	s_ashr_i32 s5, s19, 31
	v_add_u32_e32 v0, s2, v0
	s_add_u32 s2, s31, s19
	s_addc_u32 s7, s33, s5
	s_ashr_i32 s23, s16, 31
	s_add_u32 s34, s14, s16
	s_addc_u32 s35, s15, s23
	s_ashr_i32 s6, s17, 31
	s_add_u32 s5, s34, s17
	s_addc_u32 s30, s35, s6
	s_mov_b32 s22, s16
	s_mul_i32 s6, s2, s30
	s_mul_hi_u32 s16, s2, s5
	s_add_i32 s6, s16, s6
	s_mul_i32 s16, s7, s5
	s_add_i32 s17, s6, s16
	s_mul_i32 s16, s2, s5
	v_cmp_gt_i64_e32 vcc, s[16:17], v[0:1]
	s_and_saveexec_b64 s[16:17], vcc
	s_cbranch_execz .LBB4_5
; %bb.1:
	s_mov_b32 s20, s18
	s_load_dwordx4 s[16:19], s[0:1], 0x30
	s_mov_b32 s6, 0
	s_cmp_lg_u64 s[6:7], 0
	s_cbranch_scc0 .LBB4_6
; %bb.2:
	s_ashr_i32 s24, s7, 31
	s_add_u32 s0, s2, s24
	s_mov_b32 s25, s24
	s_addc_u32 s1, s7, s24
	s_xor_b64 s[28:29], s[0:1], s[24:25]
	v_cvt_f32_u32_e32 v2, s28
	v_cvt_f32_u32_e32 v3, s29
	s_sub_u32 s6, 0, s28
	s_waitcnt lgkmcnt(0)
	s_subb_u32 s19, 0, s29
	v_lshl_add_u64 v[4:5], v[0:1], 0, 0
	v_fmamk_f32 v2, v3, 0x4f800000, v2
	v_rcp_f32_e32 v2, v2
	s_nop 0
	v_mul_f32_e32 v2, 0x5f7ffffc, v2
	v_mul_f32_e32 v3, 0x2f800000, v2
	v_trunc_f32_e32 v3, v3
	v_fmamk_f32 v2, v3, 0xcf800000, v2
	v_cvt_u32_f32_e32 v3, v3
	v_cvt_u32_f32_e32 v2, v2
	v_readfirstlane_b32 s25, v3
	v_readfirstlane_b32 s0, v2
	s_mul_i32 s1, s6, s25
	s_mul_hi_u32 s37, s6, s0
	s_mul_i32 s36, s19, s0
	s_add_i32 s1, s37, s1
	s_add_i32 s1, s1, s36
	s_mul_i32 s38, s6, s0
	s_mul_i32 s37, s0, s1
	s_mul_hi_u32 s39, s0, s38
	s_mul_hi_u32 s36, s0, s1
	s_add_u32 s37, s39, s37
	s_addc_u32 s36, 0, s36
	s_mul_hi_u32 s40, s25, s38
	s_mul_i32 s38, s25, s38
	s_add_u32 s37, s37, s38
	s_mul_hi_u32 s39, s25, s1
	s_addc_u32 s36, s36, s40
	s_addc_u32 s37, s39, 0
	s_mul_i32 s1, s25, s1
	s_add_u32 s1, s36, s1
	s_addc_u32 s36, 0, s37
	s_add_u32 s37, s0, s1
	s_cselect_b64 s[0:1], -1, 0
	s_cmp_lg_u64 s[0:1], 0
	s_addc_u32 s25, s25, s36
	s_mul_i32 s0, s6, s25
	s_mul_hi_u32 s1, s6, s37
	s_add_i32 s0, s1, s0
	s_mul_i32 s19, s19, s37
	s_add_i32 s0, s0, s19
	s_mul_i32 s6, s6, s37
	s_mul_hi_u32 s19, s25, s6
	s_mul_i32 s36, s25, s6
	s_mul_i32 s39, s37, s0
	s_mul_hi_u32 s6, s37, s6
	s_mul_hi_u32 s38, s37, s0
	s_add_u32 s6, s6, s39
	s_addc_u32 s38, 0, s38
	s_add_u32 s6, s6, s36
	s_mul_hi_u32 s1, s25, s0
	s_addc_u32 s6, s38, s19
	s_addc_u32 s1, s1, 0
	s_mul_i32 s0, s25, s0
	s_add_u32 s0, s6, s0
	s_addc_u32 s6, 0, s1
	s_add_u32 s19, s37, s0
	s_cselect_b64 s[0:1], -1, 0
	s_cmp_lg_u64 s[0:1], 0
	s_addc_u32 s6, s25, s6
	v_mov_b32_e32 v3, 0
	v_mad_u64_u32 v[6:7], s[0:1], v4, s6, 0
	v_mul_hi_u32 v2, v4, s19
	v_lshl_add_u64 v[6:7], v[2:3], 0, v[6:7]
	v_mad_u64_u32 v[10:11], s[0:1], v5, s19, 0
	v_add_co_u32_e32 v1, vcc, v6, v10
	v_mad_u64_u32 v[8:9], s[0:1], v5, s6, 0
	s_nop 0
	v_addc_co_u32_e32 v2, vcc, v7, v11, vcc
	s_nop 1
	v_addc_co_u32_e32 v9, vcc, 0, v9, vcc
	v_lshl_add_u64 v[2:3], v[2:3], 0, v[8:9]
	v_mul_lo_u32 v1, s29, v2
	v_mul_lo_u32 v8, s28, v3
	v_mad_u64_u32 v[6:7], s[0:1], s28, v2, 0
	v_add3_u32 v1, v7, v8, v1
	v_sub_u32_e32 v7, v5, v1
	v_mov_b32_e32 v8, s29
	v_sub_co_u32_e32 v4, vcc, v4, v6
	s_nop 1
	v_subb_co_u32_e64 v6, s[0:1], v7, v8, vcc
	v_subrev_co_u32_e64 v7, s[0:1], s28, v4
	v_subb_co_u32_e32 v1, vcc, v5, v1, vcc
	s_nop 0
	v_subbrev_co_u32_e64 v6, s[0:1], 0, v6, s[0:1]
	v_cmp_le_u32_e64 s[0:1], s29, v6
	v_cmp_le_u32_e32 vcc, s29, v1
	s_nop 0
	v_cndmask_b32_e64 v8, 0, -1, s[0:1]
	v_cmp_le_u32_e64 s[0:1], s28, v7
	v_cndmask_b32_e64 v5, 0, -1, vcc
	v_cmp_le_u32_e32 vcc, s28, v4
	v_cndmask_b32_e64 v7, 0, -1, s[0:1]
	v_cmp_eq_u32_e64 s[0:1], s29, v6
	v_cndmask_b32_e64 v4, 0, -1, vcc
	v_cmp_eq_u32_e32 vcc, s29, v1
	v_cndmask_b32_e64 v10, v8, v7, s[0:1]
	v_lshl_add_u64 v[6:7], v[2:3], 0, 2
	v_lshl_add_u64 v[8:9], v[2:3], 0, 1
	v_cmp_ne_u32_e64 s[0:1], 0, v10
	v_cndmask_b32_e32 v1, v5, v4, vcc
	v_cmp_ne_u32_e32 vcc, 0, v1
	v_cndmask_b32_e64 v7, v9, v7, s[0:1]
	s_nop 0
	v_cndmask_b32_e32 v1, v3, v7, vcc
	v_cndmask_b32_e64 v3, v8, v6, s[0:1]
	v_cndmask_b32_e32 v2, v2, v3, vcc
	v_xor_b32_e32 v2, s24, v2
	v_xor_b32_e32 v1, s24, v1
	v_mov_b32_e32 v3, s24
	v_subrev_co_u32_e32 v2, vcc, s24, v2
	s_nop 1
	v_subb_co_u32_e32 v3, vcc, v1, v3, vcc
	s_cbranch_execnz .LBB4_4
.LBB4_3:
	v_cvt_f32_u32_e32 v1, s2
	s_sub_i32 s0, 0, s2
	v_rcp_iflag_f32_e32 v1, v1
	s_nop 0
	v_mul_f32_e32 v1, 0x4f7ffffe, v1
	v_cvt_u32_f32_e32 v1, v1
	v_mul_lo_u32 v2, s0, v1
	v_mul_hi_u32 v2, v1, v2
	v_add_u32_e32 v1, v1, v2
	v_mul_hi_u32 v1, v0, v1
	v_mul_lo_u32 v2, v1, s2
	v_sub_u32_e32 v2, v0, v2
	v_add_u32_e32 v3, 1, v1
	v_subrev_u32_e32 v4, s2, v2
	v_cmp_le_u32_e32 vcc, s2, v2
	s_nop 1
	v_cndmask_b32_e32 v2, v2, v4, vcc
	v_cndmask_b32_e32 v1, v1, v3, vcc
	v_add_u32_e32 v3, 1, v1
	v_cmp_le_u32_e32 vcc, s2, v2
	s_nop 1
	v_cndmask_b32_e32 v2, v1, v3, vcc
	v_mov_b32_e32 v3, 0
.LBB4_4:
	v_mov_b32_e32 v4, s8
	v_mov_b32_e32 v5, s9
	v_mul_lo_u32 v1, v3, s2
	v_mul_lo_u32 v8, v2, s7
	v_mad_u64_u32 v[6:7], s[8:9], v2, s2, 0
	v_add3_u32 v1, v7, v8, v1
	v_sub_co_u32_e32 v0, vcc, v0, v6
	v_mov_b32_e32 v6, s21
	s_nop 0
	v_subb_co_u32_e32 v1, vcc, 0, v1, vcc
	v_subrev_co_u32_e32 v7, vcc, s20, v0
	s_sub_u32 s0, 0, s22
	s_nop 0
	v_subb_co_u32_e32 v6, vcc, v1, v6, vcc
	v_ashrrev_i32_e32 v8, 31, v6
	v_xor_b32_e32 v9, v6, v8
	v_xor_b32_e32 v6, v7, v8
	s_subb_u32 s1, 0, s23
	v_sub_co_u32_e32 v6, vcc, v6, v8
	s_sub_u32 s24, 0, s20
	s_nop 0
	v_subb_co_u32_e32 v7, vcc, v9, v8, vcc
	s_subb_u32 s25, 0, s21
	s_waitcnt lgkmcnt(0)
	s_add_i32 s4, s17, s4
	v_mov_b32_e32 v9, s33
	v_subrev_co_u32_e32 v8, vcc, s31, v0
	s_add_i32 s3, s16, s3
	s_mul_i32 s4, s4, s18
	v_subb_co_u32_e32 v9, vcc, v1, v9, vcc
	s_add_i32 s3, s3, s4
	v_lshl_add_u64 v[8:9], v[8:9], 0, 1
	s_mul_i32 s4, s15, s3
	s_mul_hi_u32 s6, s14, s3
	v_ashrrev_i32_e32 v10, 31, v9
	s_add_i32 s6, s6, s4
	v_cmp_gt_i64_e64 s[8:9], s[24:25], 0
	v_xor_b32_e32 v8, v8, v10
	s_and_b64 s[8:9], s[8:9], exec
	v_xor_b32_e32 v9, v9, v10
	v_sub_co_u32_e32 v8, vcc, v8, v10
	v_cmp_gt_i64_e64 s[8:9], s[0:1], 0
	s_nop 0
	v_subb_co_u32_e32 v9, vcc, v9, v10, vcc
	s_mul_i32 s4, s14, s3
	s_cselect_b32 s14, s25, 0
	s_cselect_b32 s15, s24, 0
	s_and_b64 s[8:9], s[8:9], exec
	v_mov_b32_e32 v10, s23
	v_subrev_co_u32_e32 v11, vcc, s22, v2
	s_cselect_b32 s16, s1, 0
	s_cselect_b32 s17, s0, 0
	v_cmp_gt_i64_e64 s[0:1], s[20:21], 0
	v_subb_co_u32_e32 v10, vcc, v3, v10, vcc
	s_and_b64 s[0:1], s[0:1], exec
	v_cmp_gt_i64_e64 s[8:9], s[22:23], 0
	v_ashrrev_i32_e32 v12, 31, v10
	s_cselect_b32 s1, s21, 0
	s_cselect_b32 s0, s20, 0
	s_and_b64 s[8:9], s[8:9], exec
	v_xor_b32_e32 v13, v10, v12
	v_xor_b32_e32 v10, v11, v12
	s_cselect_b32 s9, s23, 0
	s_cselect_b32 s8, s22, 0
	v_sub_co_u32_e32 v10, vcc, v10, v12
	s_not_b64 s[8:9], s[8:9]
	s_nop 0
	v_subb_co_u32_e32 v11, vcc, v13, v12, vcc
	v_mov_b32_e32 v13, s35
	v_subrev_co_u32_e32 v12, vcc, s34, v2
	s_add_u32 s18, s34, s22
	s_nop 0
	v_subb_co_u32_e32 v13, vcc, v3, v13, vcc
	s_addc_u32 s19, s35, s23
	v_lshl_add_u64 v[12:13], v[12:13], 0, 1
	s_add_u32 s8, s18, s8
	v_ashrrev_i32_e32 v14, 31, v13
	s_addc_u32 s9, s19, s9
	v_xor_b32_e32 v12, v12, v14
	s_add_u32 s8, s8, s17
	v_xor_b32_e32 v13, v13, v14
	v_sub_co_u32_e32 v12, vcc, v12, v14
	s_addc_u32 s9, s9, s16
	s_nop 0
	v_subb_co_u32_e32 v13, vcc, v13, v14, vcc
	s_add_u32 s4, s8, s4
	s_addc_u32 s6, s9, s6
	v_lshl_add_u64 v[12:13], v[2:3], 0, v[12:13]
	v_sub_co_u32_e32 v12, vcc, s4, v12
	s_add_u32 s4, s31, s20
	v_mov_b32_e32 v14, s6
	s_addc_u32 s6, s33, s21
	s_not_b64 s[0:1], s[0:1]
	s_add_u32 s0, s4, s0
	v_subb_co_u32_e32 v13, vcc, v14, v13, vcc
	s_addc_u32 s1, s6, s1
	v_lshl_add_u64 v[10:11], v[12:13], 0, v[10:11]
	s_add_u32 s0, s0, s15
	v_mul_lo_u32 v12, v11, s12
	v_mul_lo_u32 v13, v10, s13
	v_mad_u64_u32 v[10:11], s[8:9], v10, s12, 0
	v_lshl_add_u64 v[8:9], v[0:1], 0, v[8:9]
	s_addc_u32 s1, s1, s14
	v_add3_u32 v11, v11, v13, v12
	v_mov_b32_e32 v12, s1
	v_sub_co_u32_e32 v8, vcc, s0, v8
	s_mul_i32 s30, s30, s3
	s_nop 0
	v_subb_co_u32_e32 v9, vcc, v12, v9, vcc
	v_lshl_add_u64 v[4:5], v[8:9], 1, v[4:5]
	v_lshl_add_u64 v[4:5], v[6:7], 1, v[4:5]
	;; [unrolled: 1-line block ×3, first 2 shown]
	global_load_ushort v6, v[4:5], off
	v_mov_b32_e32 v7, s3
	v_mad_u64_u32 v[2:3], s[0:1], s5, v7, v[2:3]
	v_add_u32_e32 v3, s30, v3
	v_mul_lo_u32 v7, v3, s2
	v_mul_lo_u32 v8, v2, s7
	v_mad_u64_u32 v[2:3], s[0:1], v2, s2, 0
	v_mov_b32_e32 v4, s10
	v_mov_b32_e32 v5, s11
	v_add3_u32 v3, v3, v8, v7
	v_lshl_add_u64 v[2:3], v[2:3], 1, v[4:5]
	v_lshl_add_u64 v[0:1], v[0:1], 1, v[2:3]
	s_waitcnt vmcnt(0)
	global_store_short v[0:1], v6, off
.LBB4_5:
	s_endpgm
.LBB4_6:
                                        ; implicit-def: $vgpr2_vgpr3
	s_branch .LBB4_3
	.section	.rodata,"a",@progbits
	.p2align	6, 0x0
	.amdhsa_kernel _ZN2at6native12_GLOBAL__N_127reflection_pad2d_out_kernelIsEEvPKT_PS3_lliiiiiii
		.amdhsa_group_segment_fixed_size 0
		.amdhsa_private_segment_fixed_size 0
		.amdhsa_kernarg_size 320
		.amdhsa_user_sgpr_count 2
		.amdhsa_user_sgpr_dispatch_ptr 0
		.amdhsa_user_sgpr_queue_ptr 0
		.amdhsa_user_sgpr_kernarg_segment_ptr 1
		.amdhsa_user_sgpr_dispatch_id 0
		.amdhsa_user_sgpr_kernarg_preload_length 0
		.amdhsa_user_sgpr_kernarg_preload_offset 0
		.amdhsa_user_sgpr_private_segment_size 0
		.amdhsa_uses_dynamic_stack 0
		.amdhsa_enable_private_segment 0
		.amdhsa_system_sgpr_workgroup_id_x 1
		.amdhsa_system_sgpr_workgroup_id_y 1
		.amdhsa_system_sgpr_workgroup_id_z 1
		.amdhsa_system_sgpr_workgroup_info 0
		.amdhsa_system_vgpr_workitem_id 0
		.amdhsa_next_free_vgpr 15
		.amdhsa_next_free_sgpr 41
		.amdhsa_accum_offset 16
		.amdhsa_reserve_vcc 1
		.amdhsa_float_round_mode_32 0
		.amdhsa_float_round_mode_16_64 0
		.amdhsa_float_denorm_mode_32 3
		.amdhsa_float_denorm_mode_16_64 3
		.amdhsa_dx10_clamp 1
		.amdhsa_ieee_mode 1
		.amdhsa_fp16_overflow 0
		.amdhsa_tg_split 0
		.amdhsa_exception_fp_ieee_invalid_op 0
		.amdhsa_exception_fp_denorm_src 0
		.amdhsa_exception_fp_ieee_div_zero 0
		.amdhsa_exception_fp_ieee_overflow 0
		.amdhsa_exception_fp_ieee_underflow 0
		.amdhsa_exception_fp_ieee_inexact 0
		.amdhsa_exception_int_div_zero 0
	.end_amdhsa_kernel
	.section	.text._ZN2at6native12_GLOBAL__N_127reflection_pad2d_out_kernelIsEEvPKT_PS3_lliiiiiii,"axG",@progbits,_ZN2at6native12_GLOBAL__N_127reflection_pad2d_out_kernelIsEEvPKT_PS3_lliiiiiii,comdat
.Lfunc_end4:
	.size	_ZN2at6native12_GLOBAL__N_127reflection_pad2d_out_kernelIsEEvPKT_PS3_lliiiiiii, .Lfunc_end4-_ZN2at6native12_GLOBAL__N_127reflection_pad2d_out_kernelIsEEvPKT_PS3_lliiiiiii
                                        ; -- End function
	.set _ZN2at6native12_GLOBAL__N_127reflection_pad2d_out_kernelIsEEvPKT_PS3_lliiiiiii.num_vgpr, 15
	.set _ZN2at6native12_GLOBAL__N_127reflection_pad2d_out_kernelIsEEvPKT_PS3_lliiiiiii.num_agpr, 0
	.set _ZN2at6native12_GLOBAL__N_127reflection_pad2d_out_kernelIsEEvPKT_PS3_lliiiiiii.numbered_sgpr, 41
	.set _ZN2at6native12_GLOBAL__N_127reflection_pad2d_out_kernelIsEEvPKT_PS3_lliiiiiii.num_named_barrier, 0
	.set _ZN2at6native12_GLOBAL__N_127reflection_pad2d_out_kernelIsEEvPKT_PS3_lliiiiiii.private_seg_size, 0
	.set _ZN2at6native12_GLOBAL__N_127reflection_pad2d_out_kernelIsEEvPKT_PS3_lliiiiiii.uses_vcc, 1
	.set _ZN2at6native12_GLOBAL__N_127reflection_pad2d_out_kernelIsEEvPKT_PS3_lliiiiiii.uses_flat_scratch, 0
	.set _ZN2at6native12_GLOBAL__N_127reflection_pad2d_out_kernelIsEEvPKT_PS3_lliiiiiii.has_dyn_sized_stack, 0
	.set _ZN2at6native12_GLOBAL__N_127reflection_pad2d_out_kernelIsEEvPKT_PS3_lliiiiiii.has_recursion, 0
	.set _ZN2at6native12_GLOBAL__N_127reflection_pad2d_out_kernelIsEEvPKT_PS3_lliiiiiii.has_indirect_call, 0
	.section	.AMDGPU.csdata,"",@progbits
; Kernel info:
; codeLenInByte = 1520
; TotalNumSgprs: 47
; NumVgprs: 15
; NumAgprs: 0
; TotalNumVgprs: 15
; ScratchSize: 0
; MemoryBound: 0
; FloatMode: 240
; IeeeMode: 1
; LDSByteSize: 0 bytes/workgroup (compile time only)
; SGPRBlocks: 5
; VGPRBlocks: 1
; NumSGPRsForWavesPerEU: 47
; NumVGPRsForWavesPerEU: 15
; AccumOffset: 16
; Occupancy: 8
; WaveLimiterHint : 0
; COMPUTE_PGM_RSRC2:SCRATCH_EN: 0
; COMPUTE_PGM_RSRC2:USER_SGPR: 2
; COMPUTE_PGM_RSRC2:TRAP_HANDLER: 0
; COMPUTE_PGM_RSRC2:TGID_X_EN: 1
; COMPUTE_PGM_RSRC2:TGID_Y_EN: 1
; COMPUTE_PGM_RSRC2:TGID_Z_EN: 1
; COMPUTE_PGM_RSRC2:TIDIG_COMP_CNT: 0
; COMPUTE_PGM_RSRC3_GFX90A:ACCUM_OFFSET: 3
; COMPUTE_PGM_RSRC3_GFX90A:TG_SPLIT: 0
	.section	.text._ZN2at6native12_GLOBAL__N_127reflection_pad2d_out_kernelIdEEvPKT_PS3_lliiiiiii,"axG",@progbits,_ZN2at6native12_GLOBAL__N_127reflection_pad2d_out_kernelIdEEvPKT_PS3_lliiiiiii,comdat
	.globl	_ZN2at6native12_GLOBAL__N_127reflection_pad2d_out_kernelIdEEvPKT_PS3_lliiiiiii ; -- Begin function _ZN2at6native12_GLOBAL__N_127reflection_pad2d_out_kernelIdEEvPKT_PS3_lliiiiiii
	.p2align	8
	.type	_ZN2at6native12_GLOBAL__N_127reflection_pad2d_out_kernelIdEEvPKT_PS3_lliiiiiii,@function
_ZN2at6native12_GLOBAL__N_127reflection_pad2d_out_kernelIdEEvPKT_PS3_lliiiiiii: ; @_ZN2at6native12_GLOBAL__N_127reflection_pad2d_out_kernelIdEEvPKT_PS3_lliiiiiii
; %bb.0:
	s_load_dword s5, s[0:1], 0x4c
	s_load_dwordx4 s[16:19], s[0:1], 0x20
	s_load_dwordx8 s[8:15], s[0:1], 0x0
	v_mov_b32_e32 v1, 0
	s_waitcnt lgkmcnt(0)
	s_and_b32 s5, s5, 0xffff
	s_ashr_i32 s21, s18, 31
	s_add_u32 s31, s12, s18
	s_mul_i32 s2, s2, s5
	s_addc_u32 s33, s13, s21
	s_ashr_i32 s5, s19, 31
	v_add_u32_e32 v0, s2, v0
	s_add_u32 s2, s31, s19
	s_addc_u32 s7, s33, s5
	s_ashr_i32 s23, s16, 31
	s_add_u32 s34, s14, s16
	s_addc_u32 s35, s15, s23
	s_ashr_i32 s6, s17, 31
	s_add_u32 s5, s34, s17
	s_addc_u32 s30, s35, s6
	s_mov_b32 s22, s16
	s_mul_i32 s6, s2, s30
	s_mul_hi_u32 s16, s2, s5
	s_add_i32 s6, s16, s6
	s_mul_i32 s16, s7, s5
	s_add_i32 s17, s6, s16
	s_mul_i32 s16, s2, s5
	v_cmp_gt_i64_e32 vcc, s[16:17], v[0:1]
	s_and_saveexec_b64 s[16:17], vcc
	s_cbranch_execz .LBB5_5
; %bb.1:
	s_mov_b32 s20, s18
	s_load_dwordx4 s[16:19], s[0:1], 0x30
	s_mov_b32 s6, 0
	s_cmp_lg_u64 s[6:7], 0
	s_cbranch_scc0 .LBB5_6
; %bb.2:
	s_ashr_i32 s24, s7, 31
	s_add_u32 s0, s2, s24
	s_mov_b32 s25, s24
	s_addc_u32 s1, s7, s24
	s_xor_b64 s[28:29], s[0:1], s[24:25]
	v_cvt_f32_u32_e32 v2, s28
	v_cvt_f32_u32_e32 v3, s29
	s_sub_u32 s6, 0, s28
	s_waitcnt lgkmcnt(0)
	s_subb_u32 s19, 0, s29
	v_lshl_add_u64 v[4:5], v[0:1], 0, 0
	v_fmamk_f32 v2, v3, 0x4f800000, v2
	v_rcp_f32_e32 v2, v2
	s_nop 0
	v_mul_f32_e32 v2, 0x5f7ffffc, v2
	v_mul_f32_e32 v3, 0x2f800000, v2
	v_trunc_f32_e32 v3, v3
	v_fmamk_f32 v2, v3, 0xcf800000, v2
	v_cvt_u32_f32_e32 v3, v3
	v_cvt_u32_f32_e32 v2, v2
	v_readfirstlane_b32 s25, v3
	v_readfirstlane_b32 s0, v2
	s_mul_i32 s1, s6, s25
	s_mul_hi_u32 s37, s6, s0
	s_mul_i32 s36, s19, s0
	s_add_i32 s1, s37, s1
	s_add_i32 s1, s1, s36
	s_mul_i32 s38, s6, s0
	s_mul_i32 s37, s0, s1
	s_mul_hi_u32 s39, s0, s38
	s_mul_hi_u32 s36, s0, s1
	s_add_u32 s37, s39, s37
	s_addc_u32 s36, 0, s36
	s_mul_hi_u32 s40, s25, s38
	s_mul_i32 s38, s25, s38
	s_add_u32 s37, s37, s38
	s_mul_hi_u32 s39, s25, s1
	s_addc_u32 s36, s36, s40
	s_addc_u32 s37, s39, 0
	s_mul_i32 s1, s25, s1
	s_add_u32 s1, s36, s1
	s_addc_u32 s36, 0, s37
	s_add_u32 s37, s0, s1
	s_cselect_b64 s[0:1], -1, 0
	s_cmp_lg_u64 s[0:1], 0
	s_addc_u32 s25, s25, s36
	s_mul_i32 s0, s6, s25
	s_mul_hi_u32 s1, s6, s37
	s_add_i32 s0, s1, s0
	s_mul_i32 s19, s19, s37
	s_add_i32 s0, s0, s19
	s_mul_i32 s6, s6, s37
	s_mul_hi_u32 s19, s25, s6
	s_mul_i32 s36, s25, s6
	s_mul_i32 s39, s37, s0
	s_mul_hi_u32 s6, s37, s6
	s_mul_hi_u32 s38, s37, s0
	s_add_u32 s6, s6, s39
	s_addc_u32 s38, 0, s38
	s_add_u32 s6, s6, s36
	s_mul_hi_u32 s1, s25, s0
	s_addc_u32 s6, s38, s19
	s_addc_u32 s1, s1, 0
	s_mul_i32 s0, s25, s0
	s_add_u32 s0, s6, s0
	s_addc_u32 s6, 0, s1
	s_add_u32 s19, s37, s0
	s_cselect_b64 s[0:1], -1, 0
	s_cmp_lg_u64 s[0:1], 0
	s_addc_u32 s6, s25, s6
	v_mov_b32_e32 v3, 0
	v_mad_u64_u32 v[6:7], s[0:1], v4, s6, 0
	v_mul_hi_u32 v2, v4, s19
	v_lshl_add_u64 v[6:7], v[2:3], 0, v[6:7]
	v_mad_u64_u32 v[10:11], s[0:1], v5, s19, 0
	v_add_co_u32_e32 v1, vcc, v6, v10
	v_mad_u64_u32 v[8:9], s[0:1], v5, s6, 0
	s_nop 0
	v_addc_co_u32_e32 v2, vcc, v7, v11, vcc
	s_nop 1
	v_addc_co_u32_e32 v9, vcc, 0, v9, vcc
	v_lshl_add_u64 v[2:3], v[2:3], 0, v[8:9]
	v_mul_lo_u32 v1, s29, v2
	v_mul_lo_u32 v8, s28, v3
	v_mad_u64_u32 v[6:7], s[0:1], s28, v2, 0
	v_add3_u32 v1, v7, v8, v1
	v_sub_u32_e32 v7, v5, v1
	v_mov_b32_e32 v8, s29
	v_sub_co_u32_e32 v4, vcc, v4, v6
	s_nop 1
	v_subb_co_u32_e64 v6, s[0:1], v7, v8, vcc
	v_subrev_co_u32_e64 v7, s[0:1], s28, v4
	v_subb_co_u32_e32 v1, vcc, v5, v1, vcc
	s_nop 0
	v_subbrev_co_u32_e64 v6, s[0:1], 0, v6, s[0:1]
	v_cmp_le_u32_e64 s[0:1], s29, v6
	v_cmp_le_u32_e32 vcc, s29, v1
	s_nop 0
	v_cndmask_b32_e64 v8, 0, -1, s[0:1]
	v_cmp_le_u32_e64 s[0:1], s28, v7
	v_cndmask_b32_e64 v5, 0, -1, vcc
	v_cmp_le_u32_e32 vcc, s28, v4
	v_cndmask_b32_e64 v7, 0, -1, s[0:1]
	v_cmp_eq_u32_e64 s[0:1], s29, v6
	v_cndmask_b32_e64 v4, 0, -1, vcc
	v_cmp_eq_u32_e32 vcc, s29, v1
	v_cndmask_b32_e64 v10, v8, v7, s[0:1]
	v_lshl_add_u64 v[6:7], v[2:3], 0, 2
	v_lshl_add_u64 v[8:9], v[2:3], 0, 1
	v_cmp_ne_u32_e64 s[0:1], 0, v10
	v_cndmask_b32_e32 v1, v5, v4, vcc
	v_cmp_ne_u32_e32 vcc, 0, v1
	v_cndmask_b32_e64 v7, v9, v7, s[0:1]
	s_nop 0
	v_cndmask_b32_e32 v1, v3, v7, vcc
	v_cndmask_b32_e64 v3, v8, v6, s[0:1]
	v_cndmask_b32_e32 v2, v2, v3, vcc
	v_xor_b32_e32 v2, s24, v2
	v_xor_b32_e32 v1, s24, v1
	v_mov_b32_e32 v3, s24
	v_subrev_co_u32_e32 v2, vcc, s24, v2
	s_nop 1
	v_subb_co_u32_e32 v3, vcc, v1, v3, vcc
	s_cbranch_execnz .LBB5_4
.LBB5_3:
	v_cvt_f32_u32_e32 v1, s2
	s_sub_i32 s0, 0, s2
	v_rcp_iflag_f32_e32 v1, v1
	s_nop 0
	v_mul_f32_e32 v1, 0x4f7ffffe, v1
	v_cvt_u32_f32_e32 v1, v1
	v_mul_lo_u32 v2, s0, v1
	v_mul_hi_u32 v2, v1, v2
	v_add_u32_e32 v1, v1, v2
	v_mul_hi_u32 v1, v0, v1
	v_mul_lo_u32 v2, v1, s2
	v_sub_u32_e32 v2, v0, v2
	v_add_u32_e32 v3, 1, v1
	v_subrev_u32_e32 v4, s2, v2
	v_cmp_le_u32_e32 vcc, s2, v2
	s_nop 1
	v_cndmask_b32_e32 v2, v2, v4, vcc
	v_cndmask_b32_e32 v1, v1, v3, vcc
	v_add_u32_e32 v3, 1, v1
	v_cmp_le_u32_e32 vcc, s2, v2
	s_nop 1
	v_cndmask_b32_e32 v2, v1, v3, vcc
	v_mov_b32_e32 v3, 0
.LBB5_4:
	v_mov_b32_e32 v4, s8
	v_mov_b32_e32 v5, s9
	v_mul_lo_u32 v1, v3, s2
	v_mul_lo_u32 v8, v2, s7
	v_mad_u64_u32 v[6:7], s[8:9], v2, s2, 0
	v_add3_u32 v1, v7, v8, v1
	v_sub_co_u32_e32 v0, vcc, v0, v6
	v_mov_b32_e32 v6, s21
	s_nop 0
	v_subb_co_u32_e32 v1, vcc, 0, v1, vcc
	v_subrev_co_u32_e32 v7, vcc, s20, v0
	s_sub_u32 s0, 0, s22
	s_nop 0
	v_subb_co_u32_e32 v6, vcc, v1, v6, vcc
	v_ashrrev_i32_e32 v8, 31, v6
	v_xor_b32_e32 v9, v6, v8
	v_xor_b32_e32 v6, v7, v8
	s_subb_u32 s1, 0, s23
	v_sub_co_u32_e32 v6, vcc, v6, v8
	s_sub_u32 s24, 0, s20
	s_nop 0
	v_subb_co_u32_e32 v7, vcc, v9, v8, vcc
	s_subb_u32 s25, 0, s21
	s_waitcnt lgkmcnt(0)
	s_add_i32 s4, s17, s4
	v_mov_b32_e32 v9, s33
	v_subrev_co_u32_e32 v8, vcc, s31, v0
	s_add_i32 s3, s16, s3
	s_mul_i32 s4, s4, s18
	v_subb_co_u32_e32 v9, vcc, v1, v9, vcc
	s_add_i32 s3, s3, s4
	v_lshl_add_u64 v[8:9], v[8:9], 0, 1
	s_mul_i32 s4, s15, s3
	s_mul_hi_u32 s6, s14, s3
	v_ashrrev_i32_e32 v10, 31, v9
	s_add_i32 s6, s6, s4
	v_cmp_gt_i64_e64 s[8:9], s[24:25], 0
	v_xor_b32_e32 v8, v8, v10
	s_and_b64 s[8:9], s[8:9], exec
	v_xor_b32_e32 v9, v9, v10
	v_sub_co_u32_e32 v8, vcc, v8, v10
	v_cmp_gt_i64_e64 s[8:9], s[0:1], 0
	s_nop 0
	v_subb_co_u32_e32 v9, vcc, v9, v10, vcc
	s_mul_i32 s4, s14, s3
	s_cselect_b32 s14, s25, 0
	s_cselect_b32 s15, s24, 0
	s_and_b64 s[8:9], s[8:9], exec
	v_mov_b32_e32 v10, s23
	v_subrev_co_u32_e32 v11, vcc, s22, v2
	s_cselect_b32 s16, s1, 0
	s_cselect_b32 s17, s0, 0
	v_cmp_gt_i64_e64 s[0:1], s[20:21], 0
	v_subb_co_u32_e32 v10, vcc, v3, v10, vcc
	s_and_b64 s[0:1], s[0:1], exec
	v_cmp_gt_i64_e64 s[8:9], s[22:23], 0
	v_ashrrev_i32_e32 v12, 31, v10
	s_cselect_b32 s1, s21, 0
	s_cselect_b32 s0, s20, 0
	s_and_b64 s[8:9], s[8:9], exec
	v_xor_b32_e32 v13, v10, v12
	v_xor_b32_e32 v10, v11, v12
	s_cselect_b32 s9, s23, 0
	s_cselect_b32 s8, s22, 0
	v_sub_co_u32_e32 v10, vcc, v10, v12
	s_not_b64 s[8:9], s[8:9]
	s_nop 0
	v_subb_co_u32_e32 v11, vcc, v13, v12, vcc
	v_mov_b32_e32 v13, s35
	v_subrev_co_u32_e32 v12, vcc, s34, v2
	s_add_u32 s18, s34, s22
	s_nop 0
	v_subb_co_u32_e32 v13, vcc, v3, v13, vcc
	s_addc_u32 s19, s35, s23
	v_lshl_add_u64 v[12:13], v[12:13], 0, 1
	s_add_u32 s8, s18, s8
	v_ashrrev_i32_e32 v14, 31, v13
	s_addc_u32 s9, s19, s9
	v_xor_b32_e32 v12, v12, v14
	s_add_u32 s8, s8, s17
	v_xor_b32_e32 v13, v13, v14
	v_sub_co_u32_e32 v12, vcc, v12, v14
	s_addc_u32 s9, s9, s16
	s_nop 0
	v_subb_co_u32_e32 v13, vcc, v13, v14, vcc
	s_add_u32 s4, s8, s4
	s_addc_u32 s6, s9, s6
	v_lshl_add_u64 v[12:13], v[2:3], 0, v[12:13]
	v_sub_co_u32_e32 v12, vcc, s4, v12
	s_add_u32 s4, s31, s20
	v_mov_b32_e32 v14, s6
	s_addc_u32 s6, s33, s21
	s_not_b64 s[0:1], s[0:1]
	s_add_u32 s0, s4, s0
	v_subb_co_u32_e32 v13, vcc, v14, v13, vcc
	s_addc_u32 s1, s6, s1
	v_lshl_add_u64 v[10:11], v[12:13], 0, v[10:11]
	s_add_u32 s0, s0, s15
	v_mul_lo_u32 v12, v11, s12
	v_mul_lo_u32 v13, v10, s13
	v_mad_u64_u32 v[10:11], s[8:9], v10, s12, 0
	v_lshl_add_u64 v[8:9], v[0:1], 0, v[8:9]
	s_addc_u32 s1, s1, s14
	v_add3_u32 v11, v11, v13, v12
	v_mov_b32_e32 v12, s1
	v_sub_co_u32_e32 v8, vcc, s0, v8
	s_mul_i32 s30, s30, s3
	s_nop 0
	v_subb_co_u32_e32 v9, vcc, v12, v9, vcc
	v_lshl_add_u64 v[4:5], v[8:9], 3, v[4:5]
	v_lshl_add_u64 v[4:5], v[6:7], 3, v[4:5]
	;; [unrolled: 1-line block ×3, first 2 shown]
	global_load_dwordx2 v[4:5], v[4:5], off
	v_mov_b32_e32 v8, s3
	v_mad_u64_u32 v[2:3], s[0:1], s5, v8, v[2:3]
	v_add_u32_e32 v3, s30, v3
	v_mul_lo_u32 v8, v3, s2
	v_mul_lo_u32 v9, v2, s7
	v_mad_u64_u32 v[2:3], s[0:1], v2, s2, 0
	v_mov_b32_e32 v6, s10
	v_mov_b32_e32 v7, s11
	v_add3_u32 v3, v3, v9, v8
	v_lshl_add_u64 v[2:3], v[2:3], 3, v[6:7]
	v_lshl_add_u64 v[0:1], v[0:1], 3, v[2:3]
	s_waitcnt vmcnt(0)
	global_store_dwordx2 v[0:1], v[4:5], off
.LBB5_5:
	s_endpgm
.LBB5_6:
                                        ; implicit-def: $vgpr2_vgpr3
	s_branch .LBB5_3
	.section	.rodata,"a",@progbits
	.p2align	6, 0x0
	.amdhsa_kernel _ZN2at6native12_GLOBAL__N_127reflection_pad2d_out_kernelIdEEvPKT_PS3_lliiiiiii
		.amdhsa_group_segment_fixed_size 0
		.amdhsa_private_segment_fixed_size 0
		.amdhsa_kernarg_size 320
		.amdhsa_user_sgpr_count 2
		.amdhsa_user_sgpr_dispatch_ptr 0
		.amdhsa_user_sgpr_queue_ptr 0
		.amdhsa_user_sgpr_kernarg_segment_ptr 1
		.amdhsa_user_sgpr_dispatch_id 0
		.amdhsa_user_sgpr_kernarg_preload_length 0
		.amdhsa_user_sgpr_kernarg_preload_offset 0
		.amdhsa_user_sgpr_private_segment_size 0
		.amdhsa_uses_dynamic_stack 0
		.amdhsa_enable_private_segment 0
		.amdhsa_system_sgpr_workgroup_id_x 1
		.amdhsa_system_sgpr_workgroup_id_y 1
		.amdhsa_system_sgpr_workgroup_id_z 1
		.amdhsa_system_sgpr_workgroup_info 0
		.amdhsa_system_vgpr_workitem_id 0
		.amdhsa_next_free_vgpr 15
		.amdhsa_next_free_sgpr 41
		.amdhsa_accum_offset 16
		.amdhsa_reserve_vcc 1
		.amdhsa_float_round_mode_32 0
		.amdhsa_float_round_mode_16_64 0
		.amdhsa_float_denorm_mode_32 3
		.amdhsa_float_denorm_mode_16_64 3
		.amdhsa_dx10_clamp 1
		.amdhsa_ieee_mode 1
		.amdhsa_fp16_overflow 0
		.amdhsa_tg_split 0
		.amdhsa_exception_fp_ieee_invalid_op 0
		.amdhsa_exception_fp_denorm_src 0
		.amdhsa_exception_fp_ieee_div_zero 0
		.amdhsa_exception_fp_ieee_overflow 0
		.amdhsa_exception_fp_ieee_underflow 0
		.amdhsa_exception_fp_ieee_inexact 0
		.amdhsa_exception_int_div_zero 0
	.end_amdhsa_kernel
	.section	.text._ZN2at6native12_GLOBAL__N_127reflection_pad2d_out_kernelIdEEvPKT_PS3_lliiiiiii,"axG",@progbits,_ZN2at6native12_GLOBAL__N_127reflection_pad2d_out_kernelIdEEvPKT_PS3_lliiiiiii,comdat
.Lfunc_end5:
	.size	_ZN2at6native12_GLOBAL__N_127reflection_pad2d_out_kernelIdEEvPKT_PS3_lliiiiiii, .Lfunc_end5-_ZN2at6native12_GLOBAL__N_127reflection_pad2d_out_kernelIdEEvPKT_PS3_lliiiiiii
                                        ; -- End function
	.set _ZN2at6native12_GLOBAL__N_127reflection_pad2d_out_kernelIdEEvPKT_PS3_lliiiiiii.num_vgpr, 15
	.set _ZN2at6native12_GLOBAL__N_127reflection_pad2d_out_kernelIdEEvPKT_PS3_lliiiiiii.num_agpr, 0
	.set _ZN2at6native12_GLOBAL__N_127reflection_pad2d_out_kernelIdEEvPKT_PS3_lliiiiiii.numbered_sgpr, 41
	.set _ZN2at6native12_GLOBAL__N_127reflection_pad2d_out_kernelIdEEvPKT_PS3_lliiiiiii.num_named_barrier, 0
	.set _ZN2at6native12_GLOBAL__N_127reflection_pad2d_out_kernelIdEEvPKT_PS3_lliiiiiii.private_seg_size, 0
	.set _ZN2at6native12_GLOBAL__N_127reflection_pad2d_out_kernelIdEEvPKT_PS3_lliiiiiii.uses_vcc, 1
	.set _ZN2at6native12_GLOBAL__N_127reflection_pad2d_out_kernelIdEEvPKT_PS3_lliiiiiii.uses_flat_scratch, 0
	.set _ZN2at6native12_GLOBAL__N_127reflection_pad2d_out_kernelIdEEvPKT_PS3_lliiiiiii.has_dyn_sized_stack, 0
	.set _ZN2at6native12_GLOBAL__N_127reflection_pad2d_out_kernelIdEEvPKT_PS3_lliiiiiii.has_recursion, 0
	.set _ZN2at6native12_GLOBAL__N_127reflection_pad2d_out_kernelIdEEvPKT_PS3_lliiiiiii.has_indirect_call, 0
	.section	.AMDGPU.csdata,"",@progbits
; Kernel info:
; codeLenInByte = 1520
; TotalNumSgprs: 47
; NumVgprs: 15
; NumAgprs: 0
; TotalNumVgprs: 15
; ScratchSize: 0
; MemoryBound: 0
; FloatMode: 240
; IeeeMode: 1
; LDSByteSize: 0 bytes/workgroup (compile time only)
; SGPRBlocks: 5
; VGPRBlocks: 1
; NumSGPRsForWavesPerEU: 47
; NumVGPRsForWavesPerEU: 15
; AccumOffset: 16
; Occupancy: 8
; WaveLimiterHint : 0
; COMPUTE_PGM_RSRC2:SCRATCH_EN: 0
; COMPUTE_PGM_RSRC2:USER_SGPR: 2
; COMPUTE_PGM_RSRC2:TRAP_HANDLER: 0
; COMPUTE_PGM_RSRC2:TGID_X_EN: 1
; COMPUTE_PGM_RSRC2:TGID_Y_EN: 1
; COMPUTE_PGM_RSRC2:TGID_Z_EN: 1
; COMPUTE_PGM_RSRC2:TIDIG_COMP_CNT: 0
; COMPUTE_PGM_RSRC3_GFX90A:ACCUM_OFFSET: 3
; COMPUTE_PGM_RSRC3_GFX90A:TG_SPLIT: 0
	.section	.text._ZN2at6native12_GLOBAL__N_127reflection_pad2d_out_kernelIfEEvPKT_PS3_lliiiiiii,"axG",@progbits,_ZN2at6native12_GLOBAL__N_127reflection_pad2d_out_kernelIfEEvPKT_PS3_lliiiiiii,comdat
	.globl	_ZN2at6native12_GLOBAL__N_127reflection_pad2d_out_kernelIfEEvPKT_PS3_lliiiiiii ; -- Begin function _ZN2at6native12_GLOBAL__N_127reflection_pad2d_out_kernelIfEEvPKT_PS3_lliiiiiii
	.p2align	8
	.type	_ZN2at6native12_GLOBAL__N_127reflection_pad2d_out_kernelIfEEvPKT_PS3_lliiiiiii,@function
_ZN2at6native12_GLOBAL__N_127reflection_pad2d_out_kernelIfEEvPKT_PS3_lliiiiiii: ; @_ZN2at6native12_GLOBAL__N_127reflection_pad2d_out_kernelIfEEvPKT_PS3_lliiiiiii
; %bb.0:
	s_load_dword s5, s[0:1], 0x4c
	s_load_dwordx4 s[16:19], s[0:1], 0x20
	s_load_dwordx8 s[8:15], s[0:1], 0x0
	v_mov_b32_e32 v1, 0
	s_waitcnt lgkmcnt(0)
	s_and_b32 s5, s5, 0xffff
	s_ashr_i32 s21, s18, 31
	s_add_u32 s31, s12, s18
	s_mul_i32 s2, s2, s5
	s_addc_u32 s33, s13, s21
	s_ashr_i32 s5, s19, 31
	v_add_u32_e32 v0, s2, v0
	s_add_u32 s2, s31, s19
	s_addc_u32 s7, s33, s5
	s_ashr_i32 s23, s16, 31
	s_add_u32 s34, s14, s16
	s_addc_u32 s35, s15, s23
	s_ashr_i32 s6, s17, 31
	s_add_u32 s5, s34, s17
	s_addc_u32 s30, s35, s6
	s_mov_b32 s22, s16
	s_mul_i32 s6, s2, s30
	s_mul_hi_u32 s16, s2, s5
	s_add_i32 s6, s16, s6
	s_mul_i32 s16, s7, s5
	s_add_i32 s17, s6, s16
	s_mul_i32 s16, s2, s5
	v_cmp_gt_i64_e32 vcc, s[16:17], v[0:1]
	s_and_saveexec_b64 s[16:17], vcc
	s_cbranch_execz .LBB6_5
; %bb.1:
	s_mov_b32 s20, s18
	s_load_dwordx4 s[16:19], s[0:1], 0x30
	s_mov_b32 s6, 0
	s_cmp_lg_u64 s[6:7], 0
	s_cbranch_scc0 .LBB6_6
; %bb.2:
	s_ashr_i32 s24, s7, 31
	s_add_u32 s0, s2, s24
	s_mov_b32 s25, s24
	s_addc_u32 s1, s7, s24
	s_xor_b64 s[28:29], s[0:1], s[24:25]
	v_cvt_f32_u32_e32 v2, s28
	v_cvt_f32_u32_e32 v3, s29
	s_sub_u32 s6, 0, s28
	s_waitcnt lgkmcnt(0)
	s_subb_u32 s19, 0, s29
	v_lshl_add_u64 v[4:5], v[0:1], 0, 0
	v_fmamk_f32 v2, v3, 0x4f800000, v2
	v_rcp_f32_e32 v2, v2
	s_nop 0
	v_mul_f32_e32 v2, 0x5f7ffffc, v2
	v_mul_f32_e32 v3, 0x2f800000, v2
	v_trunc_f32_e32 v3, v3
	v_fmamk_f32 v2, v3, 0xcf800000, v2
	v_cvt_u32_f32_e32 v3, v3
	v_cvt_u32_f32_e32 v2, v2
	v_readfirstlane_b32 s25, v3
	v_readfirstlane_b32 s0, v2
	s_mul_i32 s1, s6, s25
	s_mul_hi_u32 s37, s6, s0
	s_mul_i32 s36, s19, s0
	s_add_i32 s1, s37, s1
	s_add_i32 s1, s1, s36
	s_mul_i32 s38, s6, s0
	s_mul_i32 s37, s0, s1
	s_mul_hi_u32 s39, s0, s38
	s_mul_hi_u32 s36, s0, s1
	s_add_u32 s37, s39, s37
	s_addc_u32 s36, 0, s36
	s_mul_hi_u32 s40, s25, s38
	s_mul_i32 s38, s25, s38
	s_add_u32 s37, s37, s38
	s_mul_hi_u32 s39, s25, s1
	s_addc_u32 s36, s36, s40
	s_addc_u32 s37, s39, 0
	s_mul_i32 s1, s25, s1
	s_add_u32 s1, s36, s1
	s_addc_u32 s36, 0, s37
	s_add_u32 s37, s0, s1
	s_cselect_b64 s[0:1], -1, 0
	s_cmp_lg_u64 s[0:1], 0
	s_addc_u32 s25, s25, s36
	s_mul_i32 s0, s6, s25
	s_mul_hi_u32 s1, s6, s37
	s_add_i32 s0, s1, s0
	s_mul_i32 s19, s19, s37
	s_add_i32 s0, s0, s19
	s_mul_i32 s6, s6, s37
	s_mul_hi_u32 s19, s25, s6
	s_mul_i32 s36, s25, s6
	s_mul_i32 s39, s37, s0
	s_mul_hi_u32 s6, s37, s6
	s_mul_hi_u32 s38, s37, s0
	s_add_u32 s6, s6, s39
	s_addc_u32 s38, 0, s38
	s_add_u32 s6, s6, s36
	s_mul_hi_u32 s1, s25, s0
	s_addc_u32 s6, s38, s19
	s_addc_u32 s1, s1, 0
	s_mul_i32 s0, s25, s0
	s_add_u32 s0, s6, s0
	s_addc_u32 s6, 0, s1
	s_add_u32 s19, s37, s0
	s_cselect_b64 s[0:1], -1, 0
	s_cmp_lg_u64 s[0:1], 0
	s_addc_u32 s6, s25, s6
	v_mov_b32_e32 v3, 0
	v_mad_u64_u32 v[6:7], s[0:1], v4, s6, 0
	v_mul_hi_u32 v2, v4, s19
	v_lshl_add_u64 v[6:7], v[2:3], 0, v[6:7]
	v_mad_u64_u32 v[10:11], s[0:1], v5, s19, 0
	v_add_co_u32_e32 v1, vcc, v6, v10
	v_mad_u64_u32 v[8:9], s[0:1], v5, s6, 0
	s_nop 0
	v_addc_co_u32_e32 v2, vcc, v7, v11, vcc
	s_nop 1
	v_addc_co_u32_e32 v9, vcc, 0, v9, vcc
	v_lshl_add_u64 v[2:3], v[2:3], 0, v[8:9]
	v_mul_lo_u32 v1, s29, v2
	v_mul_lo_u32 v8, s28, v3
	v_mad_u64_u32 v[6:7], s[0:1], s28, v2, 0
	v_add3_u32 v1, v7, v8, v1
	v_sub_u32_e32 v7, v5, v1
	v_mov_b32_e32 v8, s29
	v_sub_co_u32_e32 v4, vcc, v4, v6
	s_nop 1
	v_subb_co_u32_e64 v6, s[0:1], v7, v8, vcc
	v_subrev_co_u32_e64 v7, s[0:1], s28, v4
	v_subb_co_u32_e32 v1, vcc, v5, v1, vcc
	s_nop 0
	v_subbrev_co_u32_e64 v6, s[0:1], 0, v6, s[0:1]
	v_cmp_le_u32_e64 s[0:1], s29, v6
	v_cmp_le_u32_e32 vcc, s29, v1
	s_nop 0
	v_cndmask_b32_e64 v8, 0, -1, s[0:1]
	v_cmp_le_u32_e64 s[0:1], s28, v7
	v_cndmask_b32_e64 v5, 0, -1, vcc
	v_cmp_le_u32_e32 vcc, s28, v4
	v_cndmask_b32_e64 v7, 0, -1, s[0:1]
	v_cmp_eq_u32_e64 s[0:1], s29, v6
	v_cndmask_b32_e64 v4, 0, -1, vcc
	v_cmp_eq_u32_e32 vcc, s29, v1
	v_cndmask_b32_e64 v10, v8, v7, s[0:1]
	v_lshl_add_u64 v[6:7], v[2:3], 0, 2
	v_lshl_add_u64 v[8:9], v[2:3], 0, 1
	v_cmp_ne_u32_e64 s[0:1], 0, v10
	v_cndmask_b32_e32 v1, v5, v4, vcc
	v_cmp_ne_u32_e32 vcc, 0, v1
	v_cndmask_b32_e64 v7, v9, v7, s[0:1]
	s_nop 0
	v_cndmask_b32_e32 v1, v3, v7, vcc
	v_cndmask_b32_e64 v3, v8, v6, s[0:1]
	v_cndmask_b32_e32 v2, v2, v3, vcc
	v_xor_b32_e32 v2, s24, v2
	v_xor_b32_e32 v1, s24, v1
	v_mov_b32_e32 v3, s24
	v_subrev_co_u32_e32 v2, vcc, s24, v2
	s_nop 1
	v_subb_co_u32_e32 v3, vcc, v1, v3, vcc
	s_cbranch_execnz .LBB6_4
.LBB6_3:
	v_cvt_f32_u32_e32 v1, s2
	s_sub_i32 s0, 0, s2
	v_rcp_iflag_f32_e32 v1, v1
	s_nop 0
	v_mul_f32_e32 v1, 0x4f7ffffe, v1
	v_cvt_u32_f32_e32 v1, v1
	v_mul_lo_u32 v2, s0, v1
	v_mul_hi_u32 v2, v1, v2
	v_add_u32_e32 v1, v1, v2
	v_mul_hi_u32 v1, v0, v1
	v_mul_lo_u32 v2, v1, s2
	v_sub_u32_e32 v2, v0, v2
	v_add_u32_e32 v3, 1, v1
	v_subrev_u32_e32 v4, s2, v2
	v_cmp_le_u32_e32 vcc, s2, v2
	s_nop 1
	v_cndmask_b32_e32 v2, v2, v4, vcc
	v_cndmask_b32_e32 v1, v1, v3, vcc
	v_add_u32_e32 v3, 1, v1
	v_cmp_le_u32_e32 vcc, s2, v2
	s_nop 1
	v_cndmask_b32_e32 v2, v1, v3, vcc
	v_mov_b32_e32 v3, 0
.LBB6_4:
	v_mov_b32_e32 v4, s8
	v_mov_b32_e32 v5, s9
	v_mul_lo_u32 v1, v3, s2
	v_mul_lo_u32 v8, v2, s7
	v_mad_u64_u32 v[6:7], s[8:9], v2, s2, 0
	v_add3_u32 v1, v7, v8, v1
	v_sub_co_u32_e32 v0, vcc, v0, v6
	v_mov_b32_e32 v6, s21
	s_nop 0
	v_subb_co_u32_e32 v1, vcc, 0, v1, vcc
	v_subrev_co_u32_e32 v7, vcc, s20, v0
	s_sub_u32 s0, 0, s22
	s_nop 0
	v_subb_co_u32_e32 v6, vcc, v1, v6, vcc
	v_ashrrev_i32_e32 v8, 31, v6
	v_xor_b32_e32 v9, v6, v8
	v_xor_b32_e32 v6, v7, v8
	s_subb_u32 s1, 0, s23
	v_sub_co_u32_e32 v6, vcc, v6, v8
	s_sub_u32 s24, 0, s20
	s_nop 0
	v_subb_co_u32_e32 v7, vcc, v9, v8, vcc
	s_subb_u32 s25, 0, s21
	s_waitcnt lgkmcnt(0)
	s_add_i32 s4, s17, s4
	v_mov_b32_e32 v9, s33
	v_subrev_co_u32_e32 v8, vcc, s31, v0
	s_add_i32 s3, s16, s3
	s_mul_i32 s4, s4, s18
	v_subb_co_u32_e32 v9, vcc, v1, v9, vcc
	s_add_i32 s3, s3, s4
	v_lshl_add_u64 v[8:9], v[8:9], 0, 1
	s_mul_i32 s4, s15, s3
	s_mul_hi_u32 s6, s14, s3
	v_ashrrev_i32_e32 v10, 31, v9
	s_add_i32 s6, s6, s4
	v_cmp_gt_i64_e64 s[8:9], s[24:25], 0
	v_xor_b32_e32 v8, v8, v10
	s_and_b64 s[8:9], s[8:9], exec
	v_xor_b32_e32 v9, v9, v10
	v_sub_co_u32_e32 v8, vcc, v8, v10
	v_cmp_gt_i64_e64 s[8:9], s[0:1], 0
	s_nop 0
	v_subb_co_u32_e32 v9, vcc, v9, v10, vcc
	s_mul_i32 s4, s14, s3
	s_cselect_b32 s14, s25, 0
	s_cselect_b32 s15, s24, 0
	s_and_b64 s[8:9], s[8:9], exec
	v_mov_b32_e32 v10, s23
	v_subrev_co_u32_e32 v11, vcc, s22, v2
	s_cselect_b32 s16, s1, 0
	s_cselect_b32 s17, s0, 0
	v_cmp_gt_i64_e64 s[0:1], s[20:21], 0
	v_subb_co_u32_e32 v10, vcc, v3, v10, vcc
	s_and_b64 s[0:1], s[0:1], exec
	v_cmp_gt_i64_e64 s[8:9], s[22:23], 0
	v_ashrrev_i32_e32 v12, 31, v10
	s_cselect_b32 s1, s21, 0
	s_cselect_b32 s0, s20, 0
	s_and_b64 s[8:9], s[8:9], exec
	v_xor_b32_e32 v13, v10, v12
	v_xor_b32_e32 v10, v11, v12
	s_cselect_b32 s9, s23, 0
	s_cselect_b32 s8, s22, 0
	v_sub_co_u32_e32 v10, vcc, v10, v12
	s_not_b64 s[8:9], s[8:9]
	s_nop 0
	v_subb_co_u32_e32 v11, vcc, v13, v12, vcc
	v_mov_b32_e32 v13, s35
	v_subrev_co_u32_e32 v12, vcc, s34, v2
	s_add_u32 s18, s34, s22
	s_nop 0
	v_subb_co_u32_e32 v13, vcc, v3, v13, vcc
	s_addc_u32 s19, s35, s23
	v_lshl_add_u64 v[12:13], v[12:13], 0, 1
	s_add_u32 s8, s18, s8
	v_ashrrev_i32_e32 v14, 31, v13
	s_addc_u32 s9, s19, s9
	v_xor_b32_e32 v12, v12, v14
	s_add_u32 s8, s8, s17
	v_xor_b32_e32 v13, v13, v14
	v_sub_co_u32_e32 v12, vcc, v12, v14
	s_addc_u32 s9, s9, s16
	s_nop 0
	v_subb_co_u32_e32 v13, vcc, v13, v14, vcc
	s_add_u32 s4, s8, s4
	s_addc_u32 s6, s9, s6
	v_lshl_add_u64 v[12:13], v[2:3], 0, v[12:13]
	v_sub_co_u32_e32 v12, vcc, s4, v12
	s_add_u32 s4, s31, s20
	v_mov_b32_e32 v14, s6
	s_addc_u32 s6, s33, s21
	s_not_b64 s[0:1], s[0:1]
	s_add_u32 s0, s4, s0
	v_subb_co_u32_e32 v13, vcc, v14, v13, vcc
	s_addc_u32 s1, s6, s1
	v_lshl_add_u64 v[10:11], v[12:13], 0, v[10:11]
	s_add_u32 s0, s0, s15
	v_mul_lo_u32 v12, v11, s12
	v_mul_lo_u32 v13, v10, s13
	v_mad_u64_u32 v[10:11], s[8:9], v10, s12, 0
	v_lshl_add_u64 v[8:9], v[0:1], 0, v[8:9]
	s_addc_u32 s1, s1, s14
	v_add3_u32 v11, v11, v13, v12
	v_mov_b32_e32 v12, s1
	v_sub_co_u32_e32 v8, vcc, s0, v8
	s_mul_i32 s30, s30, s3
	s_nop 0
	v_subb_co_u32_e32 v9, vcc, v12, v9, vcc
	v_lshl_add_u64 v[4:5], v[8:9], 2, v[4:5]
	v_lshl_add_u64 v[4:5], v[6:7], 2, v[4:5]
	;; [unrolled: 1-line block ×3, first 2 shown]
	global_load_dword v6, v[4:5], off
	v_mov_b32_e32 v7, s3
	v_mad_u64_u32 v[2:3], s[0:1], s5, v7, v[2:3]
	v_add_u32_e32 v3, s30, v3
	v_mul_lo_u32 v7, v3, s2
	v_mul_lo_u32 v8, v2, s7
	v_mad_u64_u32 v[2:3], s[0:1], v2, s2, 0
	v_mov_b32_e32 v4, s10
	v_mov_b32_e32 v5, s11
	v_add3_u32 v3, v3, v8, v7
	v_lshl_add_u64 v[2:3], v[2:3], 2, v[4:5]
	v_lshl_add_u64 v[0:1], v[0:1], 2, v[2:3]
	s_waitcnt vmcnt(0)
	global_store_dword v[0:1], v6, off
.LBB6_5:
	s_endpgm
.LBB6_6:
                                        ; implicit-def: $vgpr2_vgpr3
	s_branch .LBB6_3
	.section	.rodata,"a",@progbits
	.p2align	6, 0x0
	.amdhsa_kernel _ZN2at6native12_GLOBAL__N_127reflection_pad2d_out_kernelIfEEvPKT_PS3_lliiiiiii
		.amdhsa_group_segment_fixed_size 0
		.amdhsa_private_segment_fixed_size 0
		.amdhsa_kernarg_size 320
		.amdhsa_user_sgpr_count 2
		.amdhsa_user_sgpr_dispatch_ptr 0
		.amdhsa_user_sgpr_queue_ptr 0
		.amdhsa_user_sgpr_kernarg_segment_ptr 1
		.amdhsa_user_sgpr_dispatch_id 0
		.amdhsa_user_sgpr_kernarg_preload_length 0
		.amdhsa_user_sgpr_kernarg_preload_offset 0
		.amdhsa_user_sgpr_private_segment_size 0
		.amdhsa_uses_dynamic_stack 0
		.amdhsa_enable_private_segment 0
		.amdhsa_system_sgpr_workgroup_id_x 1
		.amdhsa_system_sgpr_workgroup_id_y 1
		.amdhsa_system_sgpr_workgroup_id_z 1
		.amdhsa_system_sgpr_workgroup_info 0
		.amdhsa_system_vgpr_workitem_id 0
		.amdhsa_next_free_vgpr 15
		.amdhsa_next_free_sgpr 41
		.amdhsa_accum_offset 16
		.amdhsa_reserve_vcc 1
		.amdhsa_float_round_mode_32 0
		.amdhsa_float_round_mode_16_64 0
		.amdhsa_float_denorm_mode_32 3
		.amdhsa_float_denorm_mode_16_64 3
		.amdhsa_dx10_clamp 1
		.amdhsa_ieee_mode 1
		.amdhsa_fp16_overflow 0
		.amdhsa_tg_split 0
		.amdhsa_exception_fp_ieee_invalid_op 0
		.amdhsa_exception_fp_denorm_src 0
		.amdhsa_exception_fp_ieee_div_zero 0
		.amdhsa_exception_fp_ieee_overflow 0
		.amdhsa_exception_fp_ieee_underflow 0
		.amdhsa_exception_fp_ieee_inexact 0
		.amdhsa_exception_int_div_zero 0
	.end_amdhsa_kernel
	.section	.text._ZN2at6native12_GLOBAL__N_127reflection_pad2d_out_kernelIfEEvPKT_PS3_lliiiiiii,"axG",@progbits,_ZN2at6native12_GLOBAL__N_127reflection_pad2d_out_kernelIfEEvPKT_PS3_lliiiiiii,comdat
.Lfunc_end6:
	.size	_ZN2at6native12_GLOBAL__N_127reflection_pad2d_out_kernelIfEEvPKT_PS3_lliiiiiii, .Lfunc_end6-_ZN2at6native12_GLOBAL__N_127reflection_pad2d_out_kernelIfEEvPKT_PS3_lliiiiiii
                                        ; -- End function
	.set _ZN2at6native12_GLOBAL__N_127reflection_pad2d_out_kernelIfEEvPKT_PS3_lliiiiiii.num_vgpr, 15
	.set _ZN2at6native12_GLOBAL__N_127reflection_pad2d_out_kernelIfEEvPKT_PS3_lliiiiiii.num_agpr, 0
	.set _ZN2at6native12_GLOBAL__N_127reflection_pad2d_out_kernelIfEEvPKT_PS3_lliiiiiii.numbered_sgpr, 41
	.set _ZN2at6native12_GLOBAL__N_127reflection_pad2d_out_kernelIfEEvPKT_PS3_lliiiiiii.num_named_barrier, 0
	.set _ZN2at6native12_GLOBAL__N_127reflection_pad2d_out_kernelIfEEvPKT_PS3_lliiiiiii.private_seg_size, 0
	.set _ZN2at6native12_GLOBAL__N_127reflection_pad2d_out_kernelIfEEvPKT_PS3_lliiiiiii.uses_vcc, 1
	.set _ZN2at6native12_GLOBAL__N_127reflection_pad2d_out_kernelIfEEvPKT_PS3_lliiiiiii.uses_flat_scratch, 0
	.set _ZN2at6native12_GLOBAL__N_127reflection_pad2d_out_kernelIfEEvPKT_PS3_lliiiiiii.has_dyn_sized_stack, 0
	.set _ZN2at6native12_GLOBAL__N_127reflection_pad2d_out_kernelIfEEvPKT_PS3_lliiiiiii.has_recursion, 0
	.set _ZN2at6native12_GLOBAL__N_127reflection_pad2d_out_kernelIfEEvPKT_PS3_lliiiiiii.has_indirect_call, 0
	.section	.AMDGPU.csdata,"",@progbits
; Kernel info:
; codeLenInByte = 1520
; TotalNumSgprs: 47
; NumVgprs: 15
; NumAgprs: 0
; TotalNumVgprs: 15
; ScratchSize: 0
; MemoryBound: 0
; FloatMode: 240
; IeeeMode: 1
; LDSByteSize: 0 bytes/workgroup (compile time only)
; SGPRBlocks: 5
; VGPRBlocks: 1
; NumSGPRsForWavesPerEU: 47
; NumVGPRsForWavesPerEU: 15
; AccumOffset: 16
; Occupancy: 8
; WaveLimiterHint : 0
; COMPUTE_PGM_RSRC2:SCRATCH_EN: 0
; COMPUTE_PGM_RSRC2:USER_SGPR: 2
; COMPUTE_PGM_RSRC2:TRAP_HANDLER: 0
; COMPUTE_PGM_RSRC2:TGID_X_EN: 1
; COMPUTE_PGM_RSRC2:TGID_Y_EN: 1
; COMPUTE_PGM_RSRC2:TGID_Z_EN: 1
; COMPUTE_PGM_RSRC2:TIDIG_COMP_CNT: 0
; COMPUTE_PGM_RSRC3_GFX90A:ACCUM_OFFSET: 3
; COMPUTE_PGM_RSRC3_GFX90A:TG_SPLIT: 0
	.section	.text._ZN2at6native12_GLOBAL__N_127reflection_pad2d_out_kernelIN3c107complexIdEEEEvPKT_PS6_lliiiiiii,"axG",@progbits,_ZN2at6native12_GLOBAL__N_127reflection_pad2d_out_kernelIN3c107complexIdEEEEvPKT_PS6_lliiiiiii,comdat
	.globl	_ZN2at6native12_GLOBAL__N_127reflection_pad2d_out_kernelIN3c107complexIdEEEEvPKT_PS6_lliiiiiii ; -- Begin function _ZN2at6native12_GLOBAL__N_127reflection_pad2d_out_kernelIN3c107complexIdEEEEvPKT_PS6_lliiiiiii
	.p2align	8
	.type	_ZN2at6native12_GLOBAL__N_127reflection_pad2d_out_kernelIN3c107complexIdEEEEvPKT_PS6_lliiiiiii,@function
_ZN2at6native12_GLOBAL__N_127reflection_pad2d_out_kernelIN3c107complexIdEEEEvPKT_PS6_lliiiiiii: ; @_ZN2at6native12_GLOBAL__N_127reflection_pad2d_out_kernelIN3c107complexIdEEEEvPKT_PS6_lliiiiiii
; %bb.0:
	s_load_dword s5, s[0:1], 0x4c
	s_load_dwordx4 s[16:19], s[0:1], 0x20
	s_load_dwordx8 s[8:15], s[0:1], 0x0
	v_mov_b32_e32 v1, 0
	s_waitcnt lgkmcnt(0)
	s_and_b32 s5, s5, 0xffff
	s_ashr_i32 s21, s18, 31
	s_add_u32 s31, s12, s18
	s_mul_i32 s2, s2, s5
	s_addc_u32 s33, s13, s21
	s_ashr_i32 s5, s19, 31
	v_add_u32_e32 v0, s2, v0
	s_add_u32 s2, s31, s19
	s_addc_u32 s7, s33, s5
	s_ashr_i32 s23, s16, 31
	s_add_u32 s34, s14, s16
	s_addc_u32 s35, s15, s23
	s_ashr_i32 s6, s17, 31
	s_add_u32 s5, s34, s17
	s_addc_u32 s30, s35, s6
	s_mov_b32 s22, s16
	s_mul_i32 s6, s2, s30
	s_mul_hi_u32 s16, s2, s5
	s_add_i32 s6, s16, s6
	s_mul_i32 s16, s7, s5
	s_add_i32 s17, s6, s16
	s_mul_i32 s16, s2, s5
	v_cmp_gt_i64_e32 vcc, s[16:17], v[0:1]
	s_and_saveexec_b64 s[16:17], vcc
	s_cbranch_execz .LBB7_5
; %bb.1:
	s_mov_b32 s20, s18
	s_load_dwordx4 s[16:19], s[0:1], 0x30
	s_mov_b32 s6, 0
	s_cmp_lg_u64 s[6:7], 0
	s_cbranch_scc0 .LBB7_6
; %bb.2:
	s_ashr_i32 s24, s7, 31
	s_add_u32 s0, s2, s24
	s_mov_b32 s25, s24
	s_addc_u32 s1, s7, s24
	s_xor_b64 s[28:29], s[0:1], s[24:25]
	v_cvt_f32_u32_e32 v2, s28
	v_cvt_f32_u32_e32 v3, s29
	s_sub_u32 s6, 0, s28
	s_waitcnt lgkmcnt(0)
	s_subb_u32 s19, 0, s29
	v_lshl_add_u64 v[4:5], v[0:1], 0, 0
	v_fmamk_f32 v2, v3, 0x4f800000, v2
	v_rcp_f32_e32 v2, v2
	s_nop 0
	v_mul_f32_e32 v2, 0x5f7ffffc, v2
	v_mul_f32_e32 v3, 0x2f800000, v2
	v_trunc_f32_e32 v3, v3
	v_fmamk_f32 v2, v3, 0xcf800000, v2
	v_cvt_u32_f32_e32 v3, v3
	v_cvt_u32_f32_e32 v2, v2
	v_readfirstlane_b32 s25, v3
	v_readfirstlane_b32 s0, v2
	s_mul_i32 s1, s6, s25
	s_mul_hi_u32 s37, s6, s0
	s_mul_i32 s36, s19, s0
	s_add_i32 s1, s37, s1
	s_add_i32 s1, s1, s36
	s_mul_i32 s38, s6, s0
	s_mul_i32 s37, s0, s1
	s_mul_hi_u32 s39, s0, s38
	s_mul_hi_u32 s36, s0, s1
	s_add_u32 s37, s39, s37
	s_addc_u32 s36, 0, s36
	s_mul_hi_u32 s40, s25, s38
	s_mul_i32 s38, s25, s38
	s_add_u32 s37, s37, s38
	s_mul_hi_u32 s39, s25, s1
	s_addc_u32 s36, s36, s40
	s_addc_u32 s37, s39, 0
	s_mul_i32 s1, s25, s1
	s_add_u32 s1, s36, s1
	s_addc_u32 s36, 0, s37
	s_add_u32 s37, s0, s1
	s_cselect_b64 s[0:1], -1, 0
	s_cmp_lg_u64 s[0:1], 0
	s_addc_u32 s25, s25, s36
	s_mul_i32 s0, s6, s25
	s_mul_hi_u32 s1, s6, s37
	s_add_i32 s0, s1, s0
	s_mul_i32 s19, s19, s37
	s_add_i32 s0, s0, s19
	s_mul_i32 s6, s6, s37
	s_mul_hi_u32 s19, s25, s6
	s_mul_i32 s36, s25, s6
	s_mul_i32 s39, s37, s0
	s_mul_hi_u32 s6, s37, s6
	s_mul_hi_u32 s38, s37, s0
	s_add_u32 s6, s6, s39
	s_addc_u32 s38, 0, s38
	s_add_u32 s6, s6, s36
	s_mul_hi_u32 s1, s25, s0
	s_addc_u32 s6, s38, s19
	s_addc_u32 s1, s1, 0
	s_mul_i32 s0, s25, s0
	s_add_u32 s0, s6, s0
	s_addc_u32 s6, 0, s1
	s_add_u32 s19, s37, s0
	s_cselect_b64 s[0:1], -1, 0
	s_cmp_lg_u64 s[0:1], 0
	s_addc_u32 s6, s25, s6
	v_mov_b32_e32 v3, 0
	v_mad_u64_u32 v[6:7], s[0:1], v4, s6, 0
	v_mul_hi_u32 v2, v4, s19
	v_lshl_add_u64 v[6:7], v[2:3], 0, v[6:7]
	v_mad_u64_u32 v[10:11], s[0:1], v5, s19, 0
	v_add_co_u32_e32 v1, vcc, v6, v10
	v_mad_u64_u32 v[8:9], s[0:1], v5, s6, 0
	s_nop 0
	v_addc_co_u32_e32 v2, vcc, v7, v11, vcc
	s_nop 1
	v_addc_co_u32_e32 v9, vcc, 0, v9, vcc
	v_lshl_add_u64 v[2:3], v[2:3], 0, v[8:9]
	v_mul_lo_u32 v1, s29, v2
	v_mul_lo_u32 v8, s28, v3
	v_mad_u64_u32 v[6:7], s[0:1], s28, v2, 0
	v_add3_u32 v1, v7, v8, v1
	v_sub_u32_e32 v7, v5, v1
	v_mov_b32_e32 v8, s29
	v_sub_co_u32_e32 v4, vcc, v4, v6
	s_nop 1
	v_subb_co_u32_e64 v6, s[0:1], v7, v8, vcc
	v_subrev_co_u32_e64 v7, s[0:1], s28, v4
	v_subb_co_u32_e32 v1, vcc, v5, v1, vcc
	s_nop 0
	v_subbrev_co_u32_e64 v6, s[0:1], 0, v6, s[0:1]
	v_cmp_le_u32_e64 s[0:1], s29, v6
	v_cmp_le_u32_e32 vcc, s29, v1
	s_nop 0
	v_cndmask_b32_e64 v8, 0, -1, s[0:1]
	v_cmp_le_u32_e64 s[0:1], s28, v7
	v_cndmask_b32_e64 v5, 0, -1, vcc
	v_cmp_le_u32_e32 vcc, s28, v4
	v_cndmask_b32_e64 v7, 0, -1, s[0:1]
	v_cmp_eq_u32_e64 s[0:1], s29, v6
	v_cndmask_b32_e64 v4, 0, -1, vcc
	v_cmp_eq_u32_e32 vcc, s29, v1
	v_cndmask_b32_e64 v10, v8, v7, s[0:1]
	v_lshl_add_u64 v[6:7], v[2:3], 0, 2
	v_lshl_add_u64 v[8:9], v[2:3], 0, 1
	v_cmp_ne_u32_e64 s[0:1], 0, v10
	v_cndmask_b32_e32 v1, v5, v4, vcc
	v_cmp_ne_u32_e32 vcc, 0, v1
	v_cndmask_b32_e64 v7, v9, v7, s[0:1]
	s_nop 0
	v_cndmask_b32_e32 v1, v3, v7, vcc
	v_cndmask_b32_e64 v3, v8, v6, s[0:1]
	v_cndmask_b32_e32 v2, v2, v3, vcc
	v_xor_b32_e32 v2, s24, v2
	v_xor_b32_e32 v1, s24, v1
	v_mov_b32_e32 v3, s24
	v_subrev_co_u32_e32 v2, vcc, s24, v2
	s_nop 1
	v_subb_co_u32_e32 v3, vcc, v1, v3, vcc
	s_cbranch_execnz .LBB7_4
.LBB7_3:
	v_cvt_f32_u32_e32 v1, s2
	s_sub_i32 s0, 0, s2
	v_rcp_iflag_f32_e32 v1, v1
	s_nop 0
	v_mul_f32_e32 v1, 0x4f7ffffe, v1
	v_cvt_u32_f32_e32 v1, v1
	v_mul_lo_u32 v2, s0, v1
	v_mul_hi_u32 v2, v1, v2
	v_add_u32_e32 v1, v1, v2
	v_mul_hi_u32 v1, v0, v1
	v_mul_lo_u32 v2, v1, s2
	v_sub_u32_e32 v2, v0, v2
	v_add_u32_e32 v3, 1, v1
	v_subrev_u32_e32 v4, s2, v2
	v_cmp_le_u32_e32 vcc, s2, v2
	s_nop 1
	v_cndmask_b32_e32 v2, v2, v4, vcc
	v_cndmask_b32_e32 v1, v1, v3, vcc
	v_add_u32_e32 v3, 1, v1
	v_cmp_le_u32_e32 vcc, s2, v2
	s_nop 1
	v_cndmask_b32_e32 v2, v1, v3, vcc
	v_mov_b32_e32 v3, 0
.LBB7_4:
	v_mov_b32_e32 v4, s8
	v_mov_b32_e32 v5, s9
	v_mul_lo_u32 v1, v3, s2
	v_mul_lo_u32 v8, v2, s7
	v_mad_u64_u32 v[6:7], s[8:9], v2, s2, 0
	v_add3_u32 v1, v7, v8, v1
	v_sub_co_u32_e32 v0, vcc, v0, v6
	v_mov_b32_e32 v6, s21
	s_nop 0
	v_subb_co_u32_e32 v1, vcc, 0, v1, vcc
	v_subrev_co_u32_e32 v7, vcc, s20, v0
	s_sub_u32 s0, 0, s22
	s_nop 0
	v_subb_co_u32_e32 v6, vcc, v1, v6, vcc
	v_ashrrev_i32_e32 v8, 31, v6
	v_xor_b32_e32 v9, v6, v8
	v_xor_b32_e32 v6, v7, v8
	s_subb_u32 s1, 0, s23
	v_sub_co_u32_e32 v6, vcc, v6, v8
	s_sub_u32 s24, 0, s20
	s_nop 0
	v_subb_co_u32_e32 v7, vcc, v9, v8, vcc
	s_subb_u32 s25, 0, s21
	s_waitcnt lgkmcnt(0)
	s_add_i32 s4, s17, s4
	v_mov_b32_e32 v9, s33
	v_subrev_co_u32_e32 v8, vcc, s31, v0
	s_add_i32 s3, s16, s3
	s_mul_i32 s4, s4, s18
	v_subb_co_u32_e32 v9, vcc, v1, v9, vcc
	s_add_i32 s3, s3, s4
	v_lshl_add_u64 v[8:9], v[8:9], 0, 1
	s_mul_i32 s4, s15, s3
	s_mul_hi_u32 s6, s14, s3
	v_ashrrev_i32_e32 v10, 31, v9
	s_add_i32 s6, s6, s4
	v_cmp_gt_i64_e64 s[8:9], s[24:25], 0
	v_xor_b32_e32 v8, v8, v10
	s_and_b64 s[8:9], s[8:9], exec
	v_xor_b32_e32 v9, v9, v10
	v_sub_co_u32_e32 v8, vcc, v8, v10
	v_cmp_gt_i64_e64 s[8:9], s[0:1], 0
	s_nop 0
	v_subb_co_u32_e32 v9, vcc, v9, v10, vcc
	s_mul_i32 s4, s14, s3
	s_cselect_b32 s14, s25, 0
	s_cselect_b32 s15, s24, 0
	s_and_b64 s[8:9], s[8:9], exec
	v_mov_b32_e32 v10, s23
	v_subrev_co_u32_e32 v11, vcc, s22, v2
	s_cselect_b32 s16, s1, 0
	s_cselect_b32 s17, s0, 0
	v_cmp_gt_i64_e64 s[0:1], s[20:21], 0
	v_subb_co_u32_e32 v10, vcc, v3, v10, vcc
	s_and_b64 s[0:1], s[0:1], exec
	v_cmp_gt_i64_e64 s[8:9], s[22:23], 0
	v_ashrrev_i32_e32 v12, 31, v10
	s_cselect_b32 s1, s21, 0
	s_cselect_b32 s0, s20, 0
	s_and_b64 s[8:9], s[8:9], exec
	v_xor_b32_e32 v13, v10, v12
	v_xor_b32_e32 v10, v11, v12
	s_cselect_b32 s9, s23, 0
	s_cselect_b32 s8, s22, 0
	v_sub_co_u32_e32 v10, vcc, v10, v12
	s_not_b64 s[8:9], s[8:9]
	s_nop 0
	v_subb_co_u32_e32 v11, vcc, v13, v12, vcc
	v_mov_b32_e32 v13, s35
	v_subrev_co_u32_e32 v12, vcc, s34, v2
	s_add_u32 s18, s34, s22
	s_nop 0
	v_subb_co_u32_e32 v13, vcc, v3, v13, vcc
	s_addc_u32 s19, s35, s23
	v_lshl_add_u64 v[12:13], v[12:13], 0, 1
	s_add_u32 s8, s18, s8
	v_ashrrev_i32_e32 v14, 31, v13
	s_addc_u32 s9, s19, s9
	v_xor_b32_e32 v12, v12, v14
	s_add_u32 s8, s8, s17
	v_xor_b32_e32 v13, v13, v14
	v_sub_co_u32_e32 v12, vcc, v12, v14
	s_addc_u32 s9, s9, s16
	s_nop 0
	v_subb_co_u32_e32 v13, vcc, v13, v14, vcc
	s_add_u32 s4, s8, s4
	s_addc_u32 s6, s9, s6
	v_lshl_add_u64 v[12:13], v[2:3], 0, v[12:13]
	v_sub_co_u32_e32 v12, vcc, s4, v12
	s_add_u32 s4, s31, s20
	v_mov_b32_e32 v14, s6
	s_addc_u32 s6, s33, s21
	s_not_b64 s[0:1], s[0:1]
	s_add_u32 s0, s4, s0
	v_subb_co_u32_e32 v13, vcc, v14, v13, vcc
	s_addc_u32 s1, s6, s1
	v_lshl_add_u64 v[10:11], v[12:13], 0, v[10:11]
	s_add_u32 s0, s0, s15
	v_mul_lo_u32 v12, v11, s12
	v_mul_lo_u32 v13, v10, s13
	v_mad_u64_u32 v[10:11], s[8:9], v10, s12, 0
	v_lshl_add_u64 v[8:9], v[0:1], 0, v[8:9]
	s_addc_u32 s1, s1, s14
	v_add3_u32 v11, v11, v13, v12
	v_mov_b32_e32 v12, s1
	v_sub_co_u32_e32 v8, vcc, s0, v8
	s_mul_i32 s30, s30, s3
	s_nop 0
	v_subb_co_u32_e32 v9, vcc, v12, v9, vcc
	v_lshl_add_u64 v[4:5], v[8:9], 4, v[4:5]
	v_lshl_add_u64 v[4:5], v[6:7], 4, v[4:5]
	;; [unrolled: 1-line block ×3, first 2 shown]
	global_load_dwordx4 v[4:7], v[4:5], off
	v_mov_b32_e32 v10, s3
	v_mad_u64_u32 v[2:3], s[0:1], s5, v10, v[2:3]
	v_add_u32_e32 v3, s30, v3
	v_mul_lo_u32 v10, v3, s2
	v_mul_lo_u32 v11, v2, s7
	v_mad_u64_u32 v[2:3], s[0:1], v2, s2, 0
	v_mov_b32_e32 v8, s10
	v_mov_b32_e32 v9, s11
	v_add3_u32 v3, v3, v11, v10
	v_lshl_add_u64 v[2:3], v[2:3], 4, v[8:9]
	v_lshl_add_u64 v[0:1], v[0:1], 4, v[2:3]
	s_waitcnt vmcnt(0)
	global_store_dwordx4 v[0:1], v[4:7], off
.LBB7_5:
	s_endpgm
.LBB7_6:
                                        ; implicit-def: $vgpr2_vgpr3
	s_branch .LBB7_3
	.section	.rodata,"a",@progbits
	.p2align	6, 0x0
	.amdhsa_kernel _ZN2at6native12_GLOBAL__N_127reflection_pad2d_out_kernelIN3c107complexIdEEEEvPKT_PS6_lliiiiiii
		.amdhsa_group_segment_fixed_size 0
		.amdhsa_private_segment_fixed_size 0
		.amdhsa_kernarg_size 320
		.amdhsa_user_sgpr_count 2
		.amdhsa_user_sgpr_dispatch_ptr 0
		.amdhsa_user_sgpr_queue_ptr 0
		.amdhsa_user_sgpr_kernarg_segment_ptr 1
		.amdhsa_user_sgpr_dispatch_id 0
		.amdhsa_user_sgpr_kernarg_preload_length 0
		.amdhsa_user_sgpr_kernarg_preload_offset 0
		.amdhsa_user_sgpr_private_segment_size 0
		.amdhsa_uses_dynamic_stack 0
		.amdhsa_enable_private_segment 0
		.amdhsa_system_sgpr_workgroup_id_x 1
		.amdhsa_system_sgpr_workgroup_id_y 1
		.amdhsa_system_sgpr_workgroup_id_z 1
		.amdhsa_system_sgpr_workgroup_info 0
		.amdhsa_system_vgpr_workitem_id 0
		.amdhsa_next_free_vgpr 15
		.amdhsa_next_free_sgpr 41
		.amdhsa_accum_offset 16
		.amdhsa_reserve_vcc 1
		.amdhsa_float_round_mode_32 0
		.amdhsa_float_round_mode_16_64 0
		.amdhsa_float_denorm_mode_32 3
		.amdhsa_float_denorm_mode_16_64 3
		.amdhsa_dx10_clamp 1
		.amdhsa_ieee_mode 1
		.amdhsa_fp16_overflow 0
		.amdhsa_tg_split 0
		.amdhsa_exception_fp_ieee_invalid_op 0
		.amdhsa_exception_fp_denorm_src 0
		.amdhsa_exception_fp_ieee_div_zero 0
		.amdhsa_exception_fp_ieee_overflow 0
		.amdhsa_exception_fp_ieee_underflow 0
		.amdhsa_exception_fp_ieee_inexact 0
		.amdhsa_exception_int_div_zero 0
	.end_amdhsa_kernel
	.section	.text._ZN2at6native12_GLOBAL__N_127reflection_pad2d_out_kernelIN3c107complexIdEEEEvPKT_PS6_lliiiiiii,"axG",@progbits,_ZN2at6native12_GLOBAL__N_127reflection_pad2d_out_kernelIN3c107complexIdEEEEvPKT_PS6_lliiiiiii,comdat
.Lfunc_end7:
	.size	_ZN2at6native12_GLOBAL__N_127reflection_pad2d_out_kernelIN3c107complexIdEEEEvPKT_PS6_lliiiiiii, .Lfunc_end7-_ZN2at6native12_GLOBAL__N_127reflection_pad2d_out_kernelIN3c107complexIdEEEEvPKT_PS6_lliiiiiii
                                        ; -- End function
	.set _ZN2at6native12_GLOBAL__N_127reflection_pad2d_out_kernelIN3c107complexIdEEEEvPKT_PS6_lliiiiiii.num_vgpr, 15
	.set _ZN2at6native12_GLOBAL__N_127reflection_pad2d_out_kernelIN3c107complexIdEEEEvPKT_PS6_lliiiiiii.num_agpr, 0
	.set _ZN2at6native12_GLOBAL__N_127reflection_pad2d_out_kernelIN3c107complexIdEEEEvPKT_PS6_lliiiiiii.numbered_sgpr, 41
	.set _ZN2at6native12_GLOBAL__N_127reflection_pad2d_out_kernelIN3c107complexIdEEEEvPKT_PS6_lliiiiiii.num_named_barrier, 0
	.set _ZN2at6native12_GLOBAL__N_127reflection_pad2d_out_kernelIN3c107complexIdEEEEvPKT_PS6_lliiiiiii.private_seg_size, 0
	.set _ZN2at6native12_GLOBAL__N_127reflection_pad2d_out_kernelIN3c107complexIdEEEEvPKT_PS6_lliiiiiii.uses_vcc, 1
	.set _ZN2at6native12_GLOBAL__N_127reflection_pad2d_out_kernelIN3c107complexIdEEEEvPKT_PS6_lliiiiiii.uses_flat_scratch, 0
	.set _ZN2at6native12_GLOBAL__N_127reflection_pad2d_out_kernelIN3c107complexIdEEEEvPKT_PS6_lliiiiiii.has_dyn_sized_stack, 0
	.set _ZN2at6native12_GLOBAL__N_127reflection_pad2d_out_kernelIN3c107complexIdEEEEvPKT_PS6_lliiiiiii.has_recursion, 0
	.set _ZN2at6native12_GLOBAL__N_127reflection_pad2d_out_kernelIN3c107complexIdEEEEvPKT_PS6_lliiiiiii.has_indirect_call, 0
	.section	.AMDGPU.csdata,"",@progbits
; Kernel info:
; codeLenInByte = 1520
; TotalNumSgprs: 47
; NumVgprs: 15
; NumAgprs: 0
; TotalNumVgprs: 15
; ScratchSize: 0
; MemoryBound: 0
; FloatMode: 240
; IeeeMode: 1
; LDSByteSize: 0 bytes/workgroup (compile time only)
; SGPRBlocks: 5
; VGPRBlocks: 1
; NumSGPRsForWavesPerEU: 47
; NumVGPRsForWavesPerEU: 15
; AccumOffset: 16
; Occupancy: 8
; WaveLimiterHint : 0
; COMPUTE_PGM_RSRC2:SCRATCH_EN: 0
; COMPUTE_PGM_RSRC2:USER_SGPR: 2
; COMPUTE_PGM_RSRC2:TRAP_HANDLER: 0
; COMPUTE_PGM_RSRC2:TGID_X_EN: 1
; COMPUTE_PGM_RSRC2:TGID_Y_EN: 1
; COMPUTE_PGM_RSRC2:TGID_Z_EN: 1
; COMPUTE_PGM_RSRC2:TIDIG_COMP_CNT: 0
; COMPUTE_PGM_RSRC3_GFX90A:ACCUM_OFFSET: 3
; COMPUTE_PGM_RSRC3_GFX90A:TG_SPLIT: 0
	.section	.text._ZN2at6native12_GLOBAL__N_127reflection_pad2d_out_kernelIN3c107complexIfEEEEvPKT_PS6_lliiiiiii,"axG",@progbits,_ZN2at6native12_GLOBAL__N_127reflection_pad2d_out_kernelIN3c107complexIfEEEEvPKT_PS6_lliiiiiii,comdat
	.globl	_ZN2at6native12_GLOBAL__N_127reflection_pad2d_out_kernelIN3c107complexIfEEEEvPKT_PS6_lliiiiiii ; -- Begin function _ZN2at6native12_GLOBAL__N_127reflection_pad2d_out_kernelIN3c107complexIfEEEEvPKT_PS6_lliiiiiii
	.p2align	8
	.type	_ZN2at6native12_GLOBAL__N_127reflection_pad2d_out_kernelIN3c107complexIfEEEEvPKT_PS6_lliiiiiii,@function
_ZN2at6native12_GLOBAL__N_127reflection_pad2d_out_kernelIN3c107complexIfEEEEvPKT_PS6_lliiiiiii: ; @_ZN2at6native12_GLOBAL__N_127reflection_pad2d_out_kernelIN3c107complexIfEEEEvPKT_PS6_lliiiiiii
; %bb.0:
	s_load_dword s5, s[0:1], 0x4c
	s_load_dwordx4 s[16:19], s[0:1], 0x20
	s_load_dwordx8 s[8:15], s[0:1], 0x0
	v_mov_b32_e32 v1, 0
	s_waitcnt lgkmcnt(0)
	s_and_b32 s5, s5, 0xffff
	s_ashr_i32 s21, s18, 31
	s_add_u32 s31, s12, s18
	s_mul_i32 s2, s2, s5
	s_addc_u32 s33, s13, s21
	s_ashr_i32 s5, s19, 31
	v_add_u32_e32 v0, s2, v0
	s_add_u32 s2, s31, s19
	s_addc_u32 s7, s33, s5
	s_ashr_i32 s23, s16, 31
	s_add_u32 s34, s14, s16
	s_addc_u32 s35, s15, s23
	s_ashr_i32 s6, s17, 31
	s_add_u32 s5, s34, s17
	s_addc_u32 s30, s35, s6
	s_mov_b32 s22, s16
	s_mul_i32 s6, s2, s30
	s_mul_hi_u32 s16, s2, s5
	s_add_i32 s6, s16, s6
	s_mul_i32 s16, s7, s5
	s_add_i32 s17, s6, s16
	s_mul_i32 s16, s2, s5
	v_cmp_gt_i64_e32 vcc, s[16:17], v[0:1]
	s_and_saveexec_b64 s[16:17], vcc
	s_cbranch_execz .LBB8_5
; %bb.1:
	s_mov_b32 s20, s18
	s_load_dwordx4 s[16:19], s[0:1], 0x30
	s_mov_b32 s6, 0
	s_cmp_lg_u64 s[6:7], 0
	s_cbranch_scc0 .LBB8_6
; %bb.2:
	s_ashr_i32 s24, s7, 31
	s_add_u32 s0, s2, s24
	s_mov_b32 s25, s24
	s_addc_u32 s1, s7, s24
	s_xor_b64 s[28:29], s[0:1], s[24:25]
	v_cvt_f32_u32_e32 v2, s28
	v_cvt_f32_u32_e32 v3, s29
	s_sub_u32 s6, 0, s28
	s_waitcnt lgkmcnt(0)
	s_subb_u32 s19, 0, s29
	v_lshl_add_u64 v[4:5], v[0:1], 0, 0
	v_fmamk_f32 v2, v3, 0x4f800000, v2
	v_rcp_f32_e32 v2, v2
	s_nop 0
	v_mul_f32_e32 v2, 0x5f7ffffc, v2
	v_mul_f32_e32 v3, 0x2f800000, v2
	v_trunc_f32_e32 v3, v3
	v_fmamk_f32 v2, v3, 0xcf800000, v2
	v_cvt_u32_f32_e32 v3, v3
	v_cvt_u32_f32_e32 v2, v2
	v_readfirstlane_b32 s25, v3
	v_readfirstlane_b32 s0, v2
	s_mul_i32 s1, s6, s25
	s_mul_hi_u32 s37, s6, s0
	s_mul_i32 s36, s19, s0
	s_add_i32 s1, s37, s1
	s_add_i32 s1, s1, s36
	s_mul_i32 s38, s6, s0
	s_mul_i32 s37, s0, s1
	s_mul_hi_u32 s39, s0, s38
	s_mul_hi_u32 s36, s0, s1
	s_add_u32 s37, s39, s37
	s_addc_u32 s36, 0, s36
	s_mul_hi_u32 s40, s25, s38
	s_mul_i32 s38, s25, s38
	s_add_u32 s37, s37, s38
	s_mul_hi_u32 s39, s25, s1
	s_addc_u32 s36, s36, s40
	s_addc_u32 s37, s39, 0
	s_mul_i32 s1, s25, s1
	s_add_u32 s1, s36, s1
	s_addc_u32 s36, 0, s37
	s_add_u32 s37, s0, s1
	s_cselect_b64 s[0:1], -1, 0
	s_cmp_lg_u64 s[0:1], 0
	s_addc_u32 s25, s25, s36
	s_mul_i32 s0, s6, s25
	s_mul_hi_u32 s1, s6, s37
	s_add_i32 s0, s1, s0
	s_mul_i32 s19, s19, s37
	s_add_i32 s0, s0, s19
	s_mul_i32 s6, s6, s37
	s_mul_hi_u32 s19, s25, s6
	s_mul_i32 s36, s25, s6
	s_mul_i32 s39, s37, s0
	s_mul_hi_u32 s6, s37, s6
	s_mul_hi_u32 s38, s37, s0
	s_add_u32 s6, s6, s39
	s_addc_u32 s38, 0, s38
	s_add_u32 s6, s6, s36
	s_mul_hi_u32 s1, s25, s0
	s_addc_u32 s6, s38, s19
	s_addc_u32 s1, s1, 0
	s_mul_i32 s0, s25, s0
	s_add_u32 s0, s6, s0
	s_addc_u32 s6, 0, s1
	s_add_u32 s19, s37, s0
	s_cselect_b64 s[0:1], -1, 0
	s_cmp_lg_u64 s[0:1], 0
	s_addc_u32 s6, s25, s6
	v_mov_b32_e32 v3, 0
	v_mad_u64_u32 v[6:7], s[0:1], v4, s6, 0
	v_mul_hi_u32 v2, v4, s19
	v_lshl_add_u64 v[6:7], v[2:3], 0, v[6:7]
	v_mad_u64_u32 v[10:11], s[0:1], v5, s19, 0
	v_add_co_u32_e32 v1, vcc, v6, v10
	v_mad_u64_u32 v[8:9], s[0:1], v5, s6, 0
	s_nop 0
	v_addc_co_u32_e32 v2, vcc, v7, v11, vcc
	s_nop 1
	v_addc_co_u32_e32 v9, vcc, 0, v9, vcc
	v_lshl_add_u64 v[2:3], v[2:3], 0, v[8:9]
	v_mul_lo_u32 v1, s29, v2
	v_mul_lo_u32 v8, s28, v3
	v_mad_u64_u32 v[6:7], s[0:1], s28, v2, 0
	v_add3_u32 v1, v7, v8, v1
	v_sub_u32_e32 v7, v5, v1
	v_mov_b32_e32 v8, s29
	v_sub_co_u32_e32 v4, vcc, v4, v6
	s_nop 1
	v_subb_co_u32_e64 v6, s[0:1], v7, v8, vcc
	v_subrev_co_u32_e64 v7, s[0:1], s28, v4
	v_subb_co_u32_e32 v1, vcc, v5, v1, vcc
	s_nop 0
	v_subbrev_co_u32_e64 v6, s[0:1], 0, v6, s[0:1]
	v_cmp_le_u32_e64 s[0:1], s29, v6
	v_cmp_le_u32_e32 vcc, s29, v1
	s_nop 0
	v_cndmask_b32_e64 v8, 0, -1, s[0:1]
	v_cmp_le_u32_e64 s[0:1], s28, v7
	v_cndmask_b32_e64 v5, 0, -1, vcc
	v_cmp_le_u32_e32 vcc, s28, v4
	v_cndmask_b32_e64 v7, 0, -1, s[0:1]
	v_cmp_eq_u32_e64 s[0:1], s29, v6
	v_cndmask_b32_e64 v4, 0, -1, vcc
	v_cmp_eq_u32_e32 vcc, s29, v1
	v_cndmask_b32_e64 v10, v8, v7, s[0:1]
	v_lshl_add_u64 v[6:7], v[2:3], 0, 2
	v_lshl_add_u64 v[8:9], v[2:3], 0, 1
	v_cmp_ne_u32_e64 s[0:1], 0, v10
	v_cndmask_b32_e32 v1, v5, v4, vcc
	v_cmp_ne_u32_e32 vcc, 0, v1
	v_cndmask_b32_e64 v7, v9, v7, s[0:1]
	s_nop 0
	v_cndmask_b32_e32 v1, v3, v7, vcc
	v_cndmask_b32_e64 v3, v8, v6, s[0:1]
	v_cndmask_b32_e32 v2, v2, v3, vcc
	v_xor_b32_e32 v2, s24, v2
	v_xor_b32_e32 v1, s24, v1
	v_mov_b32_e32 v3, s24
	v_subrev_co_u32_e32 v2, vcc, s24, v2
	s_nop 1
	v_subb_co_u32_e32 v3, vcc, v1, v3, vcc
	s_cbranch_execnz .LBB8_4
.LBB8_3:
	v_cvt_f32_u32_e32 v1, s2
	s_sub_i32 s0, 0, s2
	v_rcp_iflag_f32_e32 v1, v1
	s_nop 0
	v_mul_f32_e32 v1, 0x4f7ffffe, v1
	v_cvt_u32_f32_e32 v1, v1
	v_mul_lo_u32 v2, s0, v1
	v_mul_hi_u32 v2, v1, v2
	v_add_u32_e32 v1, v1, v2
	v_mul_hi_u32 v1, v0, v1
	v_mul_lo_u32 v2, v1, s2
	v_sub_u32_e32 v2, v0, v2
	v_add_u32_e32 v3, 1, v1
	v_subrev_u32_e32 v4, s2, v2
	v_cmp_le_u32_e32 vcc, s2, v2
	s_nop 1
	v_cndmask_b32_e32 v2, v2, v4, vcc
	v_cndmask_b32_e32 v1, v1, v3, vcc
	v_add_u32_e32 v3, 1, v1
	v_cmp_le_u32_e32 vcc, s2, v2
	s_nop 1
	v_cndmask_b32_e32 v2, v1, v3, vcc
	v_mov_b32_e32 v3, 0
.LBB8_4:
	v_mov_b32_e32 v4, s8
	v_mov_b32_e32 v5, s9
	v_mul_lo_u32 v1, v3, s2
	v_mul_lo_u32 v8, v2, s7
	v_mad_u64_u32 v[6:7], s[8:9], v2, s2, 0
	v_add3_u32 v1, v7, v8, v1
	v_sub_co_u32_e32 v0, vcc, v0, v6
	v_mov_b32_e32 v6, s21
	s_nop 0
	v_subb_co_u32_e32 v1, vcc, 0, v1, vcc
	v_subrev_co_u32_e32 v7, vcc, s20, v0
	s_sub_u32 s0, 0, s22
	s_nop 0
	v_subb_co_u32_e32 v6, vcc, v1, v6, vcc
	v_ashrrev_i32_e32 v8, 31, v6
	v_xor_b32_e32 v9, v6, v8
	v_xor_b32_e32 v6, v7, v8
	s_subb_u32 s1, 0, s23
	v_sub_co_u32_e32 v6, vcc, v6, v8
	s_sub_u32 s24, 0, s20
	s_nop 0
	v_subb_co_u32_e32 v7, vcc, v9, v8, vcc
	s_subb_u32 s25, 0, s21
	s_waitcnt lgkmcnt(0)
	s_add_i32 s4, s17, s4
	v_mov_b32_e32 v9, s33
	v_subrev_co_u32_e32 v8, vcc, s31, v0
	s_add_i32 s3, s16, s3
	s_mul_i32 s4, s4, s18
	v_subb_co_u32_e32 v9, vcc, v1, v9, vcc
	s_add_i32 s3, s3, s4
	v_lshl_add_u64 v[8:9], v[8:9], 0, 1
	s_mul_i32 s4, s15, s3
	s_mul_hi_u32 s6, s14, s3
	v_ashrrev_i32_e32 v10, 31, v9
	s_add_i32 s6, s6, s4
	v_cmp_gt_i64_e64 s[8:9], s[24:25], 0
	v_xor_b32_e32 v8, v8, v10
	s_and_b64 s[8:9], s[8:9], exec
	v_xor_b32_e32 v9, v9, v10
	v_sub_co_u32_e32 v8, vcc, v8, v10
	v_cmp_gt_i64_e64 s[8:9], s[0:1], 0
	s_nop 0
	v_subb_co_u32_e32 v9, vcc, v9, v10, vcc
	s_mul_i32 s4, s14, s3
	s_cselect_b32 s14, s25, 0
	s_cselect_b32 s15, s24, 0
	s_and_b64 s[8:9], s[8:9], exec
	v_mov_b32_e32 v10, s23
	v_subrev_co_u32_e32 v11, vcc, s22, v2
	s_cselect_b32 s16, s1, 0
	s_cselect_b32 s17, s0, 0
	v_cmp_gt_i64_e64 s[0:1], s[20:21], 0
	v_subb_co_u32_e32 v10, vcc, v3, v10, vcc
	s_and_b64 s[0:1], s[0:1], exec
	v_cmp_gt_i64_e64 s[8:9], s[22:23], 0
	v_ashrrev_i32_e32 v12, 31, v10
	s_cselect_b32 s1, s21, 0
	s_cselect_b32 s0, s20, 0
	s_and_b64 s[8:9], s[8:9], exec
	v_xor_b32_e32 v13, v10, v12
	v_xor_b32_e32 v10, v11, v12
	s_cselect_b32 s9, s23, 0
	s_cselect_b32 s8, s22, 0
	v_sub_co_u32_e32 v10, vcc, v10, v12
	s_not_b64 s[8:9], s[8:9]
	s_nop 0
	v_subb_co_u32_e32 v11, vcc, v13, v12, vcc
	v_mov_b32_e32 v13, s35
	v_subrev_co_u32_e32 v12, vcc, s34, v2
	s_add_u32 s18, s34, s22
	s_nop 0
	v_subb_co_u32_e32 v13, vcc, v3, v13, vcc
	s_addc_u32 s19, s35, s23
	v_lshl_add_u64 v[12:13], v[12:13], 0, 1
	s_add_u32 s8, s18, s8
	v_ashrrev_i32_e32 v14, 31, v13
	s_addc_u32 s9, s19, s9
	v_xor_b32_e32 v12, v12, v14
	s_add_u32 s8, s8, s17
	v_xor_b32_e32 v13, v13, v14
	v_sub_co_u32_e32 v12, vcc, v12, v14
	s_addc_u32 s9, s9, s16
	s_nop 0
	v_subb_co_u32_e32 v13, vcc, v13, v14, vcc
	s_add_u32 s4, s8, s4
	s_addc_u32 s6, s9, s6
	v_lshl_add_u64 v[12:13], v[2:3], 0, v[12:13]
	v_sub_co_u32_e32 v12, vcc, s4, v12
	s_add_u32 s4, s31, s20
	v_mov_b32_e32 v14, s6
	s_addc_u32 s6, s33, s21
	s_not_b64 s[0:1], s[0:1]
	s_add_u32 s0, s4, s0
	v_subb_co_u32_e32 v13, vcc, v14, v13, vcc
	s_addc_u32 s1, s6, s1
	v_lshl_add_u64 v[10:11], v[12:13], 0, v[10:11]
	s_add_u32 s0, s0, s15
	v_mul_lo_u32 v12, v11, s12
	v_mul_lo_u32 v13, v10, s13
	v_mad_u64_u32 v[10:11], s[8:9], v10, s12, 0
	v_lshl_add_u64 v[8:9], v[0:1], 0, v[8:9]
	s_addc_u32 s1, s1, s14
	v_add3_u32 v11, v11, v13, v12
	v_mov_b32_e32 v12, s1
	v_sub_co_u32_e32 v8, vcc, s0, v8
	s_mul_i32 s30, s30, s3
	s_nop 0
	v_subb_co_u32_e32 v9, vcc, v12, v9, vcc
	v_lshl_add_u64 v[4:5], v[8:9], 3, v[4:5]
	v_lshl_add_u64 v[4:5], v[6:7], 3, v[4:5]
	;; [unrolled: 1-line block ×3, first 2 shown]
	global_load_dwordx2 v[4:5], v[4:5], off
	v_mov_b32_e32 v8, s3
	v_mad_u64_u32 v[2:3], s[0:1], s5, v8, v[2:3]
	v_add_u32_e32 v3, s30, v3
	v_mul_lo_u32 v8, v3, s2
	v_mul_lo_u32 v9, v2, s7
	v_mad_u64_u32 v[2:3], s[0:1], v2, s2, 0
	v_mov_b32_e32 v6, s10
	v_mov_b32_e32 v7, s11
	v_add3_u32 v3, v3, v9, v8
	v_lshl_add_u64 v[2:3], v[2:3], 3, v[6:7]
	v_lshl_add_u64 v[0:1], v[0:1], 3, v[2:3]
	s_waitcnt vmcnt(0)
	global_store_dwordx2 v[0:1], v[4:5], off
.LBB8_5:
	s_endpgm
.LBB8_6:
                                        ; implicit-def: $vgpr2_vgpr3
	s_branch .LBB8_3
	.section	.rodata,"a",@progbits
	.p2align	6, 0x0
	.amdhsa_kernel _ZN2at6native12_GLOBAL__N_127reflection_pad2d_out_kernelIN3c107complexIfEEEEvPKT_PS6_lliiiiiii
		.amdhsa_group_segment_fixed_size 0
		.amdhsa_private_segment_fixed_size 0
		.amdhsa_kernarg_size 320
		.amdhsa_user_sgpr_count 2
		.amdhsa_user_sgpr_dispatch_ptr 0
		.amdhsa_user_sgpr_queue_ptr 0
		.amdhsa_user_sgpr_kernarg_segment_ptr 1
		.amdhsa_user_sgpr_dispatch_id 0
		.amdhsa_user_sgpr_kernarg_preload_length 0
		.amdhsa_user_sgpr_kernarg_preload_offset 0
		.amdhsa_user_sgpr_private_segment_size 0
		.amdhsa_uses_dynamic_stack 0
		.amdhsa_enable_private_segment 0
		.amdhsa_system_sgpr_workgroup_id_x 1
		.amdhsa_system_sgpr_workgroup_id_y 1
		.amdhsa_system_sgpr_workgroup_id_z 1
		.amdhsa_system_sgpr_workgroup_info 0
		.amdhsa_system_vgpr_workitem_id 0
		.amdhsa_next_free_vgpr 15
		.amdhsa_next_free_sgpr 41
		.amdhsa_accum_offset 16
		.amdhsa_reserve_vcc 1
		.amdhsa_float_round_mode_32 0
		.amdhsa_float_round_mode_16_64 0
		.amdhsa_float_denorm_mode_32 3
		.amdhsa_float_denorm_mode_16_64 3
		.amdhsa_dx10_clamp 1
		.amdhsa_ieee_mode 1
		.amdhsa_fp16_overflow 0
		.amdhsa_tg_split 0
		.amdhsa_exception_fp_ieee_invalid_op 0
		.amdhsa_exception_fp_denorm_src 0
		.amdhsa_exception_fp_ieee_div_zero 0
		.amdhsa_exception_fp_ieee_overflow 0
		.amdhsa_exception_fp_ieee_underflow 0
		.amdhsa_exception_fp_ieee_inexact 0
		.amdhsa_exception_int_div_zero 0
	.end_amdhsa_kernel
	.section	.text._ZN2at6native12_GLOBAL__N_127reflection_pad2d_out_kernelIN3c107complexIfEEEEvPKT_PS6_lliiiiiii,"axG",@progbits,_ZN2at6native12_GLOBAL__N_127reflection_pad2d_out_kernelIN3c107complexIfEEEEvPKT_PS6_lliiiiiii,comdat
.Lfunc_end8:
	.size	_ZN2at6native12_GLOBAL__N_127reflection_pad2d_out_kernelIN3c107complexIfEEEEvPKT_PS6_lliiiiiii, .Lfunc_end8-_ZN2at6native12_GLOBAL__N_127reflection_pad2d_out_kernelIN3c107complexIfEEEEvPKT_PS6_lliiiiiii
                                        ; -- End function
	.set _ZN2at6native12_GLOBAL__N_127reflection_pad2d_out_kernelIN3c107complexIfEEEEvPKT_PS6_lliiiiiii.num_vgpr, 15
	.set _ZN2at6native12_GLOBAL__N_127reflection_pad2d_out_kernelIN3c107complexIfEEEEvPKT_PS6_lliiiiiii.num_agpr, 0
	.set _ZN2at6native12_GLOBAL__N_127reflection_pad2d_out_kernelIN3c107complexIfEEEEvPKT_PS6_lliiiiiii.numbered_sgpr, 41
	.set _ZN2at6native12_GLOBAL__N_127reflection_pad2d_out_kernelIN3c107complexIfEEEEvPKT_PS6_lliiiiiii.num_named_barrier, 0
	.set _ZN2at6native12_GLOBAL__N_127reflection_pad2d_out_kernelIN3c107complexIfEEEEvPKT_PS6_lliiiiiii.private_seg_size, 0
	.set _ZN2at6native12_GLOBAL__N_127reflection_pad2d_out_kernelIN3c107complexIfEEEEvPKT_PS6_lliiiiiii.uses_vcc, 1
	.set _ZN2at6native12_GLOBAL__N_127reflection_pad2d_out_kernelIN3c107complexIfEEEEvPKT_PS6_lliiiiiii.uses_flat_scratch, 0
	.set _ZN2at6native12_GLOBAL__N_127reflection_pad2d_out_kernelIN3c107complexIfEEEEvPKT_PS6_lliiiiiii.has_dyn_sized_stack, 0
	.set _ZN2at6native12_GLOBAL__N_127reflection_pad2d_out_kernelIN3c107complexIfEEEEvPKT_PS6_lliiiiiii.has_recursion, 0
	.set _ZN2at6native12_GLOBAL__N_127reflection_pad2d_out_kernelIN3c107complexIfEEEEvPKT_PS6_lliiiiiii.has_indirect_call, 0
	.section	.AMDGPU.csdata,"",@progbits
; Kernel info:
; codeLenInByte = 1520
; TotalNumSgprs: 47
; NumVgprs: 15
; NumAgprs: 0
; TotalNumVgprs: 15
; ScratchSize: 0
; MemoryBound: 0
; FloatMode: 240
; IeeeMode: 1
; LDSByteSize: 0 bytes/workgroup (compile time only)
; SGPRBlocks: 5
; VGPRBlocks: 1
; NumSGPRsForWavesPerEU: 47
; NumVGPRsForWavesPerEU: 15
; AccumOffset: 16
; Occupancy: 8
; WaveLimiterHint : 0
; COMPUTE_PGM_RSRC2:SCRATCH_EN: 0
; COMPUTE_PGM_RSRC2:USER_SGPR: 2
; COMPUTE_PGM_RSRC2:TRAP_HANDLER: 0
; COMPUTE_PGM_RSRC2:TGID_X_EN: 1
; COMPUTE_PGM_RSRC2:TGID_Y_EN: 1
; COMPUTE_PGM_RSRC2:TGID_Z_EN: 1
; COMPUTE_PGM_RSRC2:TIDIG_COMP_CNT: 0
; COMPUTE_PGM_RSRC3_GFX90A:ACCUM_OFFSET: 3
; COMPUTE_PGM_RSRC3_GFX90A:TG_SPLIT: 0
	.section	.text._ZN2at6native12_GLOBAL__N_127reflection_pad2d_out_kernelIN3c104HalfEEEvPKT_PS5_lliiiiiii,"axG",@progbits,_ZN2at6native12_GLOBAL__N_127reflection_pad2d_out_kernelIN3c104HalfEEEvPKT_PS5_lliiiiiii,comdat
	.globl	_ZN2at6native12_GLOBAL__N_127reflection_pad2d_out_kernelIN3c104HalfEEEvPKT_PS5_lliiiiiii ; -- Begin function _ZN2at6native12_GLOBAL__N_127reflection_pad2d_out_kernelIN3c104HalfEEEvPKT_PS5_lliiiiiii
	.p2align	8
	.type	_ZN2at6native12_GLOBAL__N_127reflection_pad2d_out_kernelIN3c104HalfEEEvPKT_PS5_lliiiiiii,@function
_ZN2at6native12_GLOBAL__N_127reflection_pad2d_out_kernelIN3c104HalfEEEvPKT_PS5_lliiiiiii: ; @_ZN2at6native12_GLOBAL__N_127reflection_pad2d_out_kernelIN3c104HalfEEEvPKT_PS5_lliiiiiii
; %bb.0:
	s_load_dword s5, s[0:1], 0x4c
	s_load_dwordx4 s[16:19], s[0:1], 0x20
	s_load_dwordx8 s[8:15], s[0:1], 0x0
	v_mov_b32_e32 v1, 0
	s_waitcnt lgkmcnt(0)
	s_and_b32 s5, s5, 0xffff
	s_ashr_i32 s21, s18, 31
	s_add_u32 s31, s12, s18
	s_mul_i32 s2, s2, s5
	s_addc_u32 s33, s13, s21
	s_ashr_i32 s5, s19, 31
	v_add_u32_e32 v0, s2, v0
	s_add_u32 s2, s31, s19
	s_addc_u32 s7, s33, s5
	s_ashr_i32 s23, s16, 31
	s_add_u32 s34, s14, s16
	s_addc_u32 s35, s15, s23
	s_ashr_i32 s6, s17, 31
	s_add_u32 s5, s34, s17
	s_addc_u32 s30, s35, s6
	s_mov_b32 s22, s16
	s_mul_i32 s6, s2, s30
	s_mul_hi_u32 s16, s2, s5
	s_add_i32 s6, s16, s6
	s_mul_i32 s16, s7, s5
	s_add_i32 s17, s6, s16
	s_mul_i32 s16, s2, s5
	v_cmp_gt_i64_e32 vcc, s[16:17], v[0:1]
	s_and_saveexec_b64 s[16:17], vcc
	s_cbranch_execz .LBB9_5
; %bb.1:
	s_mov_b32 s20, s18
	s_load_dwordx4 s[16:19], s[0:1], 0x30
	s_mov_b32 s6, 0
	s_cmp_lg_u64 s[6:7], 0
	s_cbranch_scc0 .LBB9_6
; %bb.2:
	s_ashr_i32 s24, s7, 31
	s_add_u32 s0, s2, s24
	s_mov_b32 s25, s24
	s_addc_u32 s1, s7, s24
	s_xor_b64 s[28:29], s[0:1], s[24:25]
	v_cvt_f32_u32_e32 v2, s28
	v_cvt_f32_u32_e32 v3, s29
	s_sub_u32 s6, 0, s28
	s_waitcnt lgkmcnt(0)
	s_subb_u32 s19, 0, s29
	v_lshl_add_u64 v[4:5], v[0:1], 0, 0
	v_fmamk_f32 v2, v3, 0x4f800000, v2
	v_rcp_f32_e32 v2, v2
	s_nop 0
	v_mul_f32_e32 v2, 0x5f7ffffc, v2
	v_mul_f32_e32 v3, 0x2f800000, v2
	v_trunc_f32_e32 v3, v3
	v_fmamk_f32 v2, v3, 0xcf800000, v2
	v_cvt_u32_f32_e32 v3, v3
	v_cvt_u32_f32_e32 v2, v2
	v_readfirstlane_b32 s25, v3
	v_readfirstlane_b32 s0, v2
	s_mul_i32 s1, s6, s25
	s_mul_hi_u32 s37, s6, s0
	s_mul_i32 s36, s19, s0
	s_add_i32 s1, s37, s1
	s_add_i32 s1, s1, s36
	s_mul_i32 s38, s6, s0
	s_mul_i32 s37, s0, s1
	s_mul_hi_u32 s39, s0, s38
	s_mul_hi_u32 s36, s0, s1
	s_add_u32 s37, s39, s37
	s_addc_u32 s36, 0, s36
	s_mul_hi_u32 s40, s25, s38
	s_mul_i32 s38, s25, s38
	s_add_u32 s37, s37, s38
	s_mul_hi_u32 s39, s25, s1
	s_addc_u32 s36, s36, s40
	s_addc_u32 s37, s39, 0
	s_mul_i32 s1, s25, s1
	s_add_u32 s1, s36, s1
	s_addc_u32 s36, 0, s37
	s_add_u32 s37, s0, s1
	s_cselect_b64 s[0:1], -1, 0
	s_cmp_lg_u64 s[0:1], 0
	s_addc_u32 s25, s25, s36
	s_mul_i32 s0, s6, s25
	s_mul_hi_u32 s1, s6, s37
	s_add_i32 s0, s1, s0
	s_mul_i32 s19, s19, s37
	s_add_i32 s0, s0, s19
	s_mul_i32 s6, s6, s37
	s_mul_hi_u32 s19, s25, s6
	s_mul_i32 s36, s25, s6
	s_mul_i32 s39, s37, s0
	s_mul_hi_u32 s6, s37, s6
	s_mul_hi_u32 s38, s37, s0
	s_add_u32 s6, s6, s39
	s_addc_u32 s38, 0, s38
	s_add_u32 s6, s6, s36
	s_mul_hi_u32 s1, s25, s0
	s_addc_u32 s6, s38, s19
	s_addc_u32 s1, s1, 0
	s_mul_i32 s0, s25, s0
	s_add_u32 s0, s6, s0
	s_addc_u32 s6, 0, s1
	s_add_u32 s19, s37, s0
	s_cselect_b64 s[0:1], -1, 0
	s_cmp_lg_u64 s[0:1], 0
	s_addc_u32 s6, s25, s6
	v_mov_b32_e32 v3, 0
	v_mad_u64_u32 v[6:7], s[0:1], v4, s6, 0
	v_mul_hi_u32 v2, v4, s19
	v_lshl_add_u64 v[6:7], v[2:3], 0, v[6:7]
	v_mad_u64_u32 v[10:11], s[0:1], v5, s19, 0
	v_add_co_u32_e32 v1, vcc, v6, v10
	v_mad_u64_u32 v[8:9], s[0:1], v5, s6, 0
	s_nop 0
	v_addc_co_u32_e32 v2, vcc, v7, v11, vcc
	s_nop 1
	v_addc_co_u32_e32 v9, vcc, 0, v9, vcc
	v_lshl_add_u64 v[2:3], v[2:3], 0, v[8:9]
	v_mul_lo_u32 v1, s29, v2
	v_mul_lo_u32 v8, s28, v3
	v_mad_u64_u32 v[6:7], s[0:1], s28, v2, 0
	v_add3_u32 v1, v7, v8, v1
	v_sub_u32_e32 v7, v5, v1
	v_mov_b32_e32 v8, s29
	v_sub_co_u32_e32 v4, vcc, v4, v6
	s_nop 1
	v_subb_co_u32_e64 v6, s[0:1], v7, v8, vcc
	v_subrev_co_u32_e64 v7, s[0:1], s28, v4
	v_subb_co_u32_e32 v1, vcc, v5, v1, vcc
	s_nop 0
	v_subbrev_co_u32_e64 v6, s[0:1], 0, v6, s[0:1]
	v_cmp_le_u32_e64 s[0:1], s29, v6
	v_cmp_le_u32_e32 vcc, s29, v1
	s_nop 0
	v_cndmask_b32_e64 v8, 0, -1, s[0:1]
	v_cmp_le_u32_e64 s[0:1], s28, v7
	v_cndmask_b32_e64 v5, 0, -1, vcc
	v_cmp_le_u32_e32 vcc, s28, v4
	v_cndmask_b32_e64 v7, 0, -1, s[0:1]
	v_cmp_eq_u32_e64 s[0:1], s29, v6
	v_cndmask_b32_e64 v4, 0, -1, vcc
	v_cmp_eq_u32_e32 vcc, s29, v1
	v_cndmask_b32_e64 v10, v8, v7, s[0:1]
	v_lshl_add_u64 v[6:7], v[2:3], 0, 2
	v_lshl_add_u64 v[8:9], v[2:3], 0, 1
	v_cmp_ne_u32_e64 s[0:1], 0, v10
	v_cndmask_b32_e32 v1, v5, v4, vcc
	v_cmp_ne_u32_e32 vcc, 0, v1
	v_cndmask_b32_e64 v7, v9, v7, s[0:1]
	s_nop 0
	v_cndmask_b32_e32 v1, v3, v7, vcc
	v_cndmask_b32_e64 v3, v8, v6, s[0:1]
	v_cndmask_b32_e32 v2, v2, v3, vcc
	v_xor_b32_e32 v2, s24, v2
	v_xor_b32_e32 v1, s24, v1
	v_mov_b32_e32 v3, s24
	v_subrev_co_u32_e32 v2, vcc, s24, v2
	s_nop 1
	v_subb_co_u32_e32 v3, vcc, v1, v3, vcc
	s_cbranch_execnz .LBB9_4
.LBB9_3:
	v_cvt_f32_u32_e32 v1, s2
	s_sub_i32 s0, 0, s2
	v_rcp_iflag_f32_e32 v1, v1
	s_nop 0
	v_mul_f32_e32 v1, 0x4f7ffffe, v1
	v_cvt_u32_f32_e32 v1, v1
	v_mul_lo_u32 v2, s0, v1
	v_mul_hi_u32 v2, v1, v2
	v_add_u32_e32 v1, v1, v2
	v_mul_hi_u32 v1, v0, v1
	v_mul_lo_u32 v2, v1, s2
	v_sub_u32_e32 v2, v0, v2
	v_add_u32_e32 v3, 1, v1
	v_subrev_u32_e32 v4, s2, v2
	v_cmp_le_u32_e32 vcc, s2, v2
	s_nop 1
	v_cndmask_b32_e32 v2, v2, v4, vcc
	v_cndmask_b32_e32 v1, v1, v3, vcc
	v_add_u32_e32 v3, 1, v1
	v_cmp_le_u32_e32 vcc, s2, v2
	s_nop 1
	v_cndmask_b32_e32 v2, v1, v3, vcc
	v_mov_b32_e32 v3, 0
.LBB9_4:
	v_mov_b32_e32 v4, s8
	v_mov_b32_e32 v5, s9
	v_mul_lo_u32 v1, v3, s2
	v_mul_lo_u32 v8, v2, s7
	v_mad_u64_u32 v[6:7], s[8:9], v2, s2, 0
	v_add3_u32 v1, v7, v8, v1
	v_sub_co_u32_e32 v0, vcc, v0, v6
	v_mov_b32_e32 v6, s21
	s_nop 0
	v_subb_co_u32_e32 v1, vcc, 0, v1, vcc
	v_subrev_co_u32_e32 v7, vcc, s20, v0
	s_sub_u32 s0, 0, s22
	s_nop 0
	v_subb_co_u32_e32 v6, vcc, v1, v6, vcc
	v_ashrrev_i32_e32 v8, 31, v6
	v_xor_b32_e32 v9, v6, v8
	v_xor_b32_e32 v6, v7, v8
	s_subb_u32 s1, 0, s23
	v_sub_co_u32_e32 v6, vcc, v6, v8
	s_sub_u32 s24, 0, s20
	s_nop 0
	v_subb_co_u32_e32 v7, vcc, v9, v8, vcc
	s_subb_u32 s25, 0, s21
	s_waitcnt lgkmcnt(0)
	s_add_i32 s4, s17, s4
	v_mov_b32_e32 v9, s33
	v_subrev_co_u32_e32 v8, vcc, s31, v0
	s_add_i32 s3, s16, s3
	s_mul_i32 s4, s4, s18
	v_subb_co_u32_e32 v9, vcc, v1, v9, vcc
	s_add_i32 s3, s3, s4
	v_lshl_add_u64 v[8:9], v[8:9], 0, 1
	s_mul_i32 s4, s15, s3
	s_mul_hi_u32 s6, s14, s3
	v_ashrrev_i32_e32 v10, 31, v9
	s_add_i32 s6, s6, s4
	v_cmp_gt_i64_e64 s[8:9], s[24:25], 0
	v_xor_b32_e32 v8, v8, v10
	s_and_b64 s[8:9], s[8:9], exec
	v_xor_b32_e32 v9, v9, v10
	v_sub_co_u32_e32 v8, vcc, v8, v10
	v_cmp_gt_i64_e64 s[8:9], s[0:1], 0
	s_nop 0
	v_subb_co_u32_e32 v9, vcc, v9, v10, vcc
	s_mul_i32 s4, s14, s3
	s_cselect_b32 s14, s25, 0
	s_cselect_b32 s15, s24, 0
	s_and_b64 s[8:9], s[8:9], exec
	v_mov_b32_e32 v10, s23
	v_subrev_co_u32_e32 v11, vcc, s22, v2
	s_cselect_b32 s16, s1, 0
	s_cselect_b32 s17, s0, 0
	v_cmp_gt_i64_e64 s[0:1], s[20:21], 0
	v_subb_co_u32_e32 v10, vcc, v3, v10, vcc
	s_and_b64 s[0:1], s[0:1], exec
	v_cmp_gt_i64_e64 s[8:9], s[22:23], 0
	v_ashrrev_i32_e32 v12, 31, v10
	s_cselect_b32 s1, s21, 0
	s_cselect_b32 s0, s20, 0
	s_and_b64 s[8:9], s[8:9], exec
	v_xor_b32_e32 v13, v10, v12
	v_xor_b32_e32 v10, v11, v12
	s_cselect_b32 s9, s23, 0
	s_cselect_b32 s8, s22, 0
	v_sub_co_u32_e32 v10, vcc, v10, v12
	s_not_b64 s[8:9], s[8:9]
	s_nop 0
	v_subb_co_u32_e32 v11, vcc, v13, v12, vcc
	v_mov_b32_e32 v13, s35
	v_subrev_co_u32_e32 v12, vcc, s34, v2
	s_add_u32 s18, s34, s22
	s_nop 0
	v_subb_co_u32_e32 v13, vcc, v3, v13, vcc
	s_addc_u32 s19, s35, s23
	v_lshl_add_u64 v[12:13], v[12:13], 0, 1
	s_add_u32 s8, s18, s8
	v_ashrrev_i32_e32 v14, 31, v13
	s_addc_u32 s9, s19, s9
	v_xor_b32_e32 v12, v12, v14
	s_add_u32 s8, s8, s17
	v_xor_b32_e32 v13, v13, v14
	v_sub_co_u32_e32 v12, vcc, v12, v14
	s_addc_u32 s9, s9, s16
	s_nop 0
	v_subb_co_u32_e32 v13, vcc, v13, v14, vcc
	s_add_u32 s4, s8, s4
	s_addc_u32 s6, s9, s6
	v_lshl_add_u64 v[12:13], v[2:3], 0, v[12:13]
	v_sub_co_u32_e32 v12, vcc, s4, v12
	s_add_u32 s4, s31, s20
	v_mov_b32_e32 v14, s6
	s_addc_u32 s6, s33, s21
	s_not_b64 s[0:1], s[0:1]
	s_add_u32 s0, s4, s0
	v_subb_co_u32_e32 v13, vcc, v14, v13, vcc
	s_addc_u32 s1, s6, s1
	v_lshl_add_u64 v[10:11], v[12:13], 0, v[10:11]
	s_add_u32 s0, s0, s15
	v_mul_lo_u32 v12, v11, s12
	v_mul_lo_u32 v13, v10, s13
	v_mad_u64_u32 v[10:11], s[8:9], v10, s12, 0
	v_lshl_add_u64 v[8:9], v[0:1], 0, v[8:9]
	s_addc_u32 s1, s1, s14
	v_add3_u32 v11, v11, v13, v12
	v_mov_b32_e32 v12, s1
	v_sub_co_u32_e32 v8, vcc, s0, v8
	s_mul_i32 s30, s30, s3
	s_nop 0
	v_subb_co_u32_e32 v9, vcc, v12, v9, vcc
	v_lshl_add_u64 v[4:5], v[8:9], 1, v[4:5]
	v_lshl_add_u64 v[4:5], v[6:7], 1, v[4:5]
	;; [unrolled: 1-line block ×3, first 2 shown]
	global_load_ushort v6, v[4:5], off
	v_mov_b32_e32 v7, s3
	v_mad_u64_u32 v[2:3], s[0:1], s5, v7, v[2:3]
	v_add_u32_e32 v3, s30, v3
	v_mul_lo_u32 v7, v3, s2
	v_mul_lo_u32 v8, v2, s7
	v_mad_u64_u32 v[2:3], s[0:1], v2, s2, 0
	v_mov_b32_e32 v4, s10
	v_mov_b32_e32 v5, s11
	v_add3_u32 v3, v3, v8, v7
	v_lshl_add_u64 v[2:3], v[2:3], 1, v[4:5]
	v_lshl_add_u64 v[0:1], v[0:1], 1, v[2:3]
	s_waitcnt vmcnt(0)
	global_store_short v[0:1], v6, off
.LBB9_5:
	s_endpgm
.LBB9_6:
                                        ; implicit-def: $vgpr2_vgpr3
	s_branch .LBB9_3
	.section	.rodata,"a",@progbits
	.p2align	6, 0x0
	.amdhsa_kernel _ZN2at6native12_GLOBAL__N_127reflection_pad2d_out_kernelIN3c104HalfEEEvPKT_PS5_lliiiiiii
		.amdhsa_group_segment_fixed_size 0
		.amdhsa_private_segment_fixed_size 0
		.amdhsa_kernarg_size 320
		.amdhsa_user_sgpr_count 2
		.amdhsa_user_sgpr_dispatch_ptr 0
		.amdhsa_user_sgpr_queue_ptr 0
		.amdhsa_user_sgpr_kernarg_segment_ptr 1
		.amdhsa_user_sgpr_dispatch_id 0
		.amdhsa_user_sgpr_kernarg_preload_length 0
		.amdhsa_user_sgpr_kernarg_preload_offset 0
		.amdhsa_user_sgpr_private_segment_size 0
		.amdhsa_uses_dynamic_stack 0
		.amdhsa_enable_private_segment 0
		.amdhsa_system_sgpr_workgroup_id_x 1
		.amdhsa_system_sgpr_workgroup_id_y 1
		.amdhsa_system_sgpr_workgroup_id_z 1
		.amdhsa_system_sgpr_workgroup_info 0
		.amdhsa_system_vgpr_workitem_id 0
		.amdhsa_next_free_vgpr 15
		.amdhsa_next_free_sgpr 41
		.amdhsa_accum_offset 16
		.amdhsa_reserve_vcc 1
		.amdhsa_float_round_mode_32 0
		.amdhsa_float_round_mode_16_64 0
		.amdhsa_float_denorm_mode_32 3
		.amdhsa_float_denorm_mode_16_64 3
		.amdhsa_dx10_clamp 1
		.amdhsa_ieee_mode 1
		.amdhsa_fp16_overflow 0
		.amdhsa_tg_split 0
		.amdhsa_exception_fp_ieee_invalid_op 0
		.amdhsa_exception_fp_denorm_src 0
		.amdhsa_exception_fp_ieee_div_zero 0
		.amdhsa_exception_fp_ieee_overflow 0
		.amdhsa_exception_fp_ieee_underflow 0
		.amdhsa_exception_fp_ieee_inexact 0
		.amdhsa_exception_int_div_zero 0
	.end_amdhsa_kernel
	.section	.text._ZN2at6native12_GLOBAL__N_127reflection_pad2d_out_kernelIN3c104HalfEEEvPKT_PS5_lliiiiiii,"axG",@progbits,_ZN2at6native12_GLOBAL__N_127reflection_pad2d_out_kernelIN3c104HalfEEEvPKT_PS5_lliiiiiii,comdat
.Lfunc_end9:
	.size	_ZN2at6native12_GLOBAL__N_127reflection_pad2d_out_kernelIN3c104HalfEEEvPKT_PS5_lliiiiiii, .Lfunc_end9-_ZN2at6native12_GLOBAL__N_127reflection_pad2d_out_kernelIN3c104HalfEEEvPKT_PS5_lliiiiiii
                                        ; -- End function
	.set _ZN2at6native12_GLOBAL__N_127reflection_pad2d_out_kernelIN3c104HalfEEEvPKT_PS5_lliiiiiii.num_vgpr, 15
	.set _ZN2at6native12_GLOBAL__N_127reflection_pad2d_out_kernelIN3c104HalfEEEvPKT_PS5_lliiiiiii.num_agpr, 0
	.set _ZN2at6native12_GLOBAL__N_127reflection_pad2d_out_kernelIN3c104HalfEEEvPKT_PS5_lliiiiiii.numbered_sgpr, 41
	.set _ZN2at6native12_GLOBAL__N_127reflection_pad2d_out_kernelIN3c104HalfEEEvPKT_PS5_lliiiiiii.num_named_barrier, 0
	.set _ZN2at6native12_GLOBAL__N_127reflection_pad2d_out_kernelIN3c104HalfEEEvPKT_PS5_lliiiiiii.private_seg_size, 0
	.set _ZN2at6native12_GLOBAL__N_127reflection_pad2d_out_kernelIN3c104HalfEEEvPKT_PS5_lliiiiiii.uses_vcc, 1
	.set _ZN2at6native12_GLOBAL__N_127reflection_pad2d_out_kernelIN3c104HalfEEEvPKT_PS5_lliiiiiii.uses_flat_scratch, 0
	.set _ZN2at6native12_GLOBAL__N_127reflection_pad2d_out_kernelIN3c104HalfEEEvPKT_PS5_lliiiiiii.has_dyn_sized_stack, 0
	.set _ZN2at6native12_GLOBAL__N_127reflection_pad2d_out_kernelIN3c104HalfEEEvPKT_PS5_lliiiiiii.has_recursion, 0
	.set _ZN2at6native12_GLOBAL__N_127reflection_pad2d_out_kernelIN3c104HalfEEEvPKT_PS5_lliiiiiii.has_indirect_call, 0
	.section	.AMDGPU.csdata,"",@progbits
; Kernel info:
; codeLenInByte = 1520
; TotalNumSgprs: 47
; NumVgprs: 15
; NumAgprs: 0
; TotalNumVgprs: 15
; ScratchSize: 0
; MemoryBound: 0
; FloatMode: 240
; IeeeMode: 1
; LDSByteSize: 0 bytes/workgroup (compile time only)
; SGPRBlocks: 5
; VGPRBlocks: 1
; NumSGPRsForWavesPerEU: 47
; NumVGPRsForWavesPerEU: 15
; AccumOffset: 16
; Occupancy: 8
; WaveLimiterHint : 0
; COMPUTE_PGM_RSRC2:SCRATCH_EN: 0
; COMPUTE_PGM_RSRC2:USER_SGPR: 2
; COMPUTE_PGM_RSRC2:TRAP_HANDLER: 0
; COMPUTE_PGM_RSRC2:TGID_X_EN: 1
; COMPUTE_PGM_RSRC2:TGID_Y_EN: 1
; COMPUTE_PGM_RSRC2:TGID_Z_EN: 1
; COMPUTE_PGM_RSRC2:TIDIG_COMP_CNT: 0
; COMPUTE_PGM_RSRC3_GFX90A:ACCUM_OFFSET: 3
; COMPUTE_PGM_RSRC3_GFX90A:TG_SPLIT: 0
	.section	.text._ZN2at6native12_GLOBAL__N_127reflection_pad2d_out_kernelIN3c108BFloat16EEEvPKT_PS5_lliiiiiii,"axG",@progbits,_ZN2at6native12_GLOBAL__N_127reflection_pad2d_out_kernelIN3c108BFloat16EEEvPKT_PS5_lliiiiiii,comdat
	.globl	_ZN2at6native12_GLOBAL__N_127reflection_pad2d_out_kernelIN3c108BFloat16EEEvPKT_PS5_lliiiiiii ; -- Begin function _ZN2at6native12_GLOBAL__N_127reflection_pad2d_out_kernelIN3c108BFloat16EEEvPKT_PS5_lliiiiiii
	.p2align	8
	.type	_ZN2at6native12_GLOBAL__N_127reflection_pad2d_out_kernelIN3c108BFloat16EEEvPKT_PS5_lliiiiiii,@function
_ZN2at6native12_GLOBAL__N_127reflection_pad2d_out_kernelIN3c108BFloat16EEEvPKT_PS5_lliiiiiii: ; @_ZN2at6native12_GLOBAL__N_127reflection_pad2d_out_kernelIN3c108BFloat16EEEvPKT_PS5_lliiiiiii
; %bb.0:
	s_load_dword s5, s[0:1], 0x4c
	s_load_dwordx4 s[16:19], s[0:1], 0x20
	s_load_dwordx8 s[8:15], s[0:1], 0x0
	v_mov_b32_e32 v1, 0
	s_waitcnt lgkmcnt(0)
	s_and_b32 s5, s5, 0xffff
	s_ashr_i32 s21, s18, 31
	s_add_u32 s31, s12, s18
	s_mul_i32 s2, s2, s5
	s_addc_u32 s33, s13, s21
	s_ashr_i32 s5, s19, 31
	v_add_u32_e32 v0, s2, v0
	s_add_u32 s2, s31, s19
	s_addc_u32 s7, s33, s5
	s_ashr_i32 s23, s16, 31
	s_add_u32 s34, s14, s16
	s_addc_u32 s35, s15, s23
	s_ashr_i32 s6, s17, 31
	s_add_u32 s5, s34, s17
	s_addc_u32 s30, s35, s6
	s_mov_b32 s22, s16
	s_mul_i32 s6, s2, s30
	s_mul_hi_u32 s16, s2, s5
	s_add_i32 s6, s16, s6
	s_mul_i32 s16, s7, s5
	s_add_i32 s17, s6, s16
	s_mul_i32 s16, s2, s5
	v_cmp_gt_i64_e32 vcc, s[16:17], v[0:1]
	s_and_saveexec_b64 s[16:17], vcc
	s_cbranch_execz .LBB10_5
; %bb.1:
	s_mov_b32 s20, s18
	s_load_dwordx4 s[16:19], s[0:1], 0x30
	s_mov_b32 s6, 0
	s_cmp_lg_u64 s[6:7], 0
	s_cbranch_scc0 .LBB10_6
; %bb.2:
	s_ashr_i32 s24, s7, 31
	s_add_u32 s0, s2, s24
	s_mov_b32 s25, s24
	s_addc_u32 s1, s7, s24
	s_xor_b64 s[28:29], s[0:1], s[24:25]
	v_cvt_f32_u32_e32 v2, s28
	v_cvt_f32_u32_e32 v3, s29
	s_sub_u32 s6, 0, s28
	s_waitcnt lgkmcnt(0)
	s_subb_u32 s19, 0, s29
	v_lshl_add_u64 v[4:5], v[0:1], 0, 0
	v_fmamk_f32 v2, v3, 0x4f800000, v2
	v_rcp_f32_e32 v2, v2
	s_nop 0
	v_mul_f32_e32 v2, 0x5f7ffffc, v2
	v_mul_f32_e32 v3, 0x2f800000, v2
	v_trunc_f32_e32 v3, v3
	v_fmamk_f32 v2, v3, 0xcf800000, v2
	v_cvt_u32_f32_e32 v3, v3
	v_cvt_u32_f32_e32 v2, v2
	v_readfirstlane_b32 s25, v3
	v_readfirstlane_b32 s0, v2
	s_mul_i32 s1, s6, s25
	s_mul_hi_u32 s37, s6, s0
	s_mul_i32 s36, s19, s0
	s_add_i32 s1, s37, s1
	s_add_i32 s1, s1, s36
	s_mul_i32 s38, s6, s0
	s_mul_i32 s37, s0, s1
	s_mul_hi_u32 s39, s0, s38
	s_mul_hi_u32 s36, s0, s1
	s_add_u32 s37, s39, s37
	s_addc_u32 s36, 0, s36
	s_mul_hi_u32 s40, s25, s38
	s_mul_i32 s38, s25, s38
	s_add_u32 s37, s37, s38
	s_mul_hi_u32 s39, s25, s1
	s_addc_u32 s36, s36, s40
	s_addc_u32 s37, s39, 0
	s_mul_i32 s1, s25, s1
	s_add_u32 s1, s36, s1
	s_addc_u32 s36, 0, s37
	s_add_u32 s37, s0, s1
	s_cselect_b64 s[0:1], -1, 0
	s_cmp_lg_u64 s[0:1], 0
	s_addc_u32 s25, s25, s36
	s_mul_i32 s0, s6, s25
	s_mul_hi_u32 s1, s6, s37
	s_add_i32 s0, s1, s0
	s_mul_i32 s19, s19, s37
	s_add_i32 s0, s0, s19
	s_mul_i32 s6, s6, s37
	s_mul_hi_u32 s19, s25, s6
	s_mul_i32 s36, s25, s6
	s_mul_i32 s39, s37, s0
	s_mul_hi_u32 s6, s37, s6
	s_mul_hi_u32 s38, s37, s0
	s_add_u32 s6, s6, s39
	s_addc_u32 s38, 0, s38
	s_add_u32 s6, s6, s36
	s_mul_hi_u32 s1, s25, s0
	s_addc_u32 s6, s38, s19
	s_addc_u32 s1, s1, 0
	s_mul_i32 s0, s25, s0
	s_add_u32 s0, s6, s0
	s_addc_u32 s6, 0, s1
	s_add_u32 s19, s37, s0
	s_cselect_b64 s[0:1], -1, 0
	s_cmp_lg_u64 s[0:1], 0
	s_addc_u32 s6, s25, s6
	v_mov_b32_e32 v3, 0
	v_mad_u64_u32 v[6:7], s[0:1], v4, s6, 0
	v_mul_hi_u32 v2, v4, s19
	v_lshl_add_u64 v[6:7], v[2:3], 0, v[6:7]
	v_mad_u64_u32 v[10:11], s[0:1], v5, s19, 0
	v_add_co_u32_e32 v1, vcc, v6, v10
	v_mad_u64_u32 v[8:9], s[0:1], v5, s6, 0
	s_nop 0
	v_addc_co_u32_e32 v2, vcc, v7, v11, vcc
	s_nop 1
	v_addc_co_u32_e32 v9, vcc, 0, v9, vcc
	v_lshl_add_u64 v[2:3], v[2:3], 0, v[8:9]
	v_mul_lo_u32 v1, s29, v2
	v_mul_lo_u32 v8, s28, v3
	v_mad_u64_u32 v[6:7], s[0:1], s28, v2, 0
	v_add3_u32 v1, v7, v8, v1
	v_sub_u32_e32 v7, v5, v1
	v_mov_b32_e32 v8, s29
	v_sub_co_u32_e32 v4, vcc, v4, v6
	s_nop 1
	v_subb_co_u32_e64 v6, s[0:1], v7, v8, vcc
	v_subrev_co_u32_e64 v7, s[0:1], s28, v4
	v_subb_co_u32_e32 v1, vcc, v5, v1, vcc
	s_nop 0
	v_subbrev_co_u32_e64 v6, s[0:1], 0, v6, s[0:1]
	v_cmp_le_u32_e64 s[0:1], s29, v6
	v_cmp_le_u32_e32 vcc, s29, v1
	s_nop 0
	v_cndmask_b32_e64 v8, 0, -1, s[0:1]
	v_cmp_le_u32_e64 s[0:1], s28, v7
	v_cndmask_b32_e64 v5, 0, -1, vcc
	v_cmp_le_u32_e32 vcc, s28, v4
	v_cndmask_b32_e64 v7, 0, -1, s[0:1]
	v_cmp_eq_u32_e64 s[0:1], s29, v6
	v_cndmask_b32_e64 v4, 0, -1, vcc
	v_cmp_eq_u32_e32 vcc, s29, v1
	v_cndmask_b32_e64 v10, v8, v7, s[0:1]
	v_lshl_add_u64 v[6:7], v[2:3], 0, 2
	v_lshl_add_u64 v[8:9], v[2:3], 0, 1
	v_cmp_ne_u32_e64 s[0:1], 0, v10
	v_cndmask_b32_e32 v1, v5, v4, vcc
	v_cmp_ne_u32_e32 vcc, 0, v1
	v_cndmask_b32_e64 v7, v9, v7, s[0:1]
	s_nop 0
	v_cndmask_b32_e32 v1, v3, v7, vcc
	v_cndmask_b32_e64 v3, v8, v6, s[0:1]
	v_cndmask_b32_e32 v2, v2, v3, vcc
	v_xor_b32_e32 v2, s24, v2
	v_xor_b32_e32 v1, s24, v1
	v_mov_b32_e32 v3, s24
	v_subrev_co_u32_e32 v2, vcc, s24, v2
	s_nop 1
	v_subb_co_u32_e32 v3, vcc, v1, v3, vcc
	s_cbranch_execnz .LBB10_4
.LBB10_3:
	v_cvt_f32_u32_e32 v1, s2
	s_sub_i32 s0, 0, s2
	v_rcp_iflag_f32_e32 v1, v1
	s_nop 0
	v_mul_f32_e32 v1, 0x4f7ffffe, v1
	v_cvt_u32_f32_e32 v1, v1
	v_mul_lo_u32 v2, s0, v1
	v_mul_hi_u32 v2, v1, v2
	v_add_u32_e32 v1, v1, v2
	v_mul_hi_u32 v1, v0, v1
	v_mul_lo_u32 v2, v1, s2
	v_sub_u32_e32 v2, v0, v2
	v_add_u32_e32 v3, 1, v1
	v_subrev_u32_e32 v4, s2, v2
	v_cmp_le_u32_e32 vcc, s2, v2
	s_nop 1
	v_cndmask_b32_e32 v2, v2, v4, vcc
	v_cndmask_b32_e32 v1, v1, v3, vcc
	v_add_u32_e32 v3, 1, v1
	v_cmp_le_u32_e32 vcc, s2, v2
	s_nop 1
	v_cndmask_b32_e32 v2, v1, v3, vcc
	v_mov_b32_e32 v3, 0
.LBB10_4:
	v_mov_b32_e32 v4, s8
	v_mov_b32_e32 v5, s9
	v_mul_lo_u32 v1, v3, s2
	v_mul_lo_u32 v8, v2, s7
	v_mad_u64_u32 v[6:7], s[8:9], v2, s2, 0
	v_add3_u32 v1, v7, v8, v1
	v_sub_co_u32_e32 v0, vcc, v0, v6
	v_mov_b32_e32 v6, s21
	s_nop 0
	v_subb_co_u32_e32 v1, vcc, 0, v1, vcc
	v_subrev_co_u32_e32 v7, vcc, s20, v0
	s_sub_u32 s0, 0, s22
	s_nop 0
	v_subb_co_u32_e32 v6, vcc, v1, v6, vcc
	v_ashrrev_i32_e32 v8, 31, v6
	v_xor_b32_e32 v9, v6, v8
	v_xor_b32_e32 v6, v7, v8
	s_subb_u32 s1, 0, s23
	v_sub_co_u32_e32 v6, vcc, v6, v8
	s_sub_u32 s24, 0, s20
	s_nop 0
	v_subb_co_u32_e32 v7, vcc, v9, v8, vcc
	s_subb_u32 s25, 0, s21
	s_waitcnt lgkmcnt(0)
	s_add_i32 s4, s17, s4
	v_mov_b32_e32 v9, s33
	v_subrev_co_u32_e32 v8, vcc, s31, v0
	s_add_i32 s3, s16, s3
	s_mul_i32 s4, s4, s18
	v_subb_co_u32_e32 v9, vcc, v1, v9, vcc
	s_add_i32 s3, s3, s4
	v_lshl_add_u64 v[8:9], v[8:9], 0, 1
	s_mul_i32 s4, s15, s3
	s_mul_hi_u32 s6, s14, s3
	v_ashrrev_i32_e32 v10, 31, v9
	s_add_i32 s6, s6, s4
	v_cmp_gt_i64_e64 s[8:9], s[24:25], 0
	v_xor_b32_e32 v8, v8, v10
	s_and_b64 s[8:9], s[8:9], exec
	v_xor_b32_e32 v9, v9, v10
	v_sub_co_u32_e32 v8, vcc, v8, v10
	v_cmp_gt_i64_e64 s[8:9], s[0:1], 0
	s_nop 0
	v_subb_co_u32_e32 v9, vcc, v9, v10, vcc
	s_mul_i32 s4, s14, s3
	s_cselect_b32 s14, s25, 0
	s_cselect_b32 s15, s24, 0
	s_and_b64 s[8:9], s[8:9], exec
	v_mov_b32_e32 v10, s23
	v_subrev_co_u32_e32 v11, vcc, s22, v2
	s_cselect_b32 s16, s1, 0
	s_cselect_b32 s17, s0, 0
	v_cmp_gt_i64_e64 s[0:1], s[20:21], 0
	v_subb_co_u32_e32 v10, vcc, v3, v10, vcc
	s_and_b64 s[0:1], s[0:1], exec
	v_cmp_gt_i64_e64 s[8:9], s[22:23], 0
	v_ashrrev_i32_e32 v12, 31, v10
	s_cselect_b32 s1, s21, 0
	s_cselect_b32 s0, s20, 0
	s_and_b64 s[8:9], s[8:9], exec
	v_xor_b32_e32 v13, v10, v12
	v_xor_b32_e32 v10, v11, v12
	s_cselect_b32 s9, s23, 0
	s_cselect_b32 s8, s22, 0
	v_sub_co_u32_e32 v10, vcc, v10, v12
	s_not_b64 s[8:9], s[8:9]
	s_nop 0
	v_subb_co_u32_e32 v11, vcc, v13, v12, vcc
	v_mov_b32_e32 v13, s35
	v_subrev_co_u32_e32 v12, vcc, s34, v2
	s_add_u32 s18, s34, s22
	s_nop 0
	v_subb_co_u32_e32 v13, vcc, v3, v13, vcc
	s_addc_u32 s19, s35, s23
	v_lshl_add_u64 v[12:13], v[12:13], 0, 1
	s_add_u32 s8, s18, s8
	v_ashrrev_i32_e32 v14, 31, v13
	s_addc_u32 s9, s19, s9
	v_xor_b32_e32 v12, v12, v14
	s_add_u32 s8, s8, s17
	v_xor_b32_e32 v13, v13, v14
	v_sub_co_u32_e32 v12, vcc, v12, v14
	s_addc_u32 s9, s9, s16
	s_nop 0
	v_subb_co_u32_e32 v13, vcc, v13, v14, vcc
	s_add_u32 s4, s8, s4
	s_addc_u32 s6, s9, s6
	v_lshl_add_u64 v[12:13], v[2:3], 0, v[12:13]
	v_sub_co_u32_e32 v12, vcc, s4, v12
	s_add_u32 s4, s31, s20
	v_mov_b32_e32 v14, s6
	s_addc_u32 s6, s33, s21
	s_not_b64 s[0:1], s[0:1]
	s_add_u32 s0, s4, s0
	v_subb_co_u32_e32 v13, vcc, v14, v13, vcc
	s_addc_u32 s1, s6, s1
	v_lshl_add_u64 v[10:11], v[12:13], 0, v[10:11]
	s_add_u32 s0, s0, s15
	v_mul_lo_u32 v12, v11, s12
	v_mul_lo_u32 v13, v10, s13
	v_mad_u64_u32 v[10:11], s[8:9], v10, s12, 0
	v_lshl_add_u64 v[8:9], v[0:1], 0, v[8:9]
	s_addc_u32 s1, s1, s14
	v_add3_u32 v11, v11, v13, v12
	v_mov_b32_e32 v12, s1
	v_sub_co_u32_e32 v8, vcc, s0, v8
	s_mul_i32 s30, s30, s3
	s_nop 0
	v_subb_co_u32_e32 v9, vcc, v12, v9, vcc
	v_lshl_add_u64 v[4:5], v[8:9], 1, v[4:5]
	v_lshl_add_u64 v[4:5], v[6:7], 1, v[4:5]
	;; [unrolled: 1-line block ×3, first 2 shown]
	global_load_ushort v6, v[4:5], off
	v_mov_b32_e32 v7, s3
	v_mad_u64_u32 v[2:3], s[0:1], s5, v7, v[2:3]
	v_add_u32_e32 v3, s30, v3
	v_mul_lo_u32 v7, v3, s2
	v_mul_lo_u32 v8, v2, s7
	v_mad_u64_u32 v[2:3], s[0:1], v2, s2, 0
	v_mov_b32_e32 v4, s10
	v_mov_b32_e32 v5, s11
	v_add3_u32 v3, v3, v8, v7
	v_lshl_add_u64 v[2:3], v[2:3], 1, v[4:5]
	v_lshl_add_u64 v[0:1], v[0:1], 1, v[2:3]
	s_waitcnt vmcnt(0)
	global_store_short v[0:1], v6, off
.LBB10_5:
	s_endpgm
.LBB10_6:
                                        ; implicit-def: $vgpr2_vgpr3
	s_branch .LBB10_3
	.section	.rodata,"a",@progbits
	.p2align	6, 0x0
	.amdhsa_kernel _ZN2at6native12_GLOBAL__N_127reflection_pad2d_out_kernelIN3c108BFloat16EEEvPKT_PS5_lliiiiiii
		.amdhsa_group_segment_fixed_size 0
		.amdhsa_private_segment_fixed_size 0
		.amdhsa_kernarg_size 320
		.amdhsa_user_sgpr_count 2
		.amdhsa_user_sgpr_dispatch_ptr 0
		.amdhsa_user_sgpr_queue_ptr 0
		.amdhsa_user_sgpr_kernarg_segment_ptr 1
		.amdhsa_user_sgpr_dispatch_id 0
		.amdhsa_user_sgpr_kernarg_preload_length 0
		.amdhsa_user_sgpr_kernarg_preload_offset 0
		.amdhsa_user_sgpr_private_segment_size 0
		.amdhsa_uses_dynamic_stack 0
		.amdhsa_enable_private_segment 0
		.amdhsa_system_sgpr_workgroup_id_x 1
		.amdhsa_system_sgpr_workgroup_id_y 1
		.amdhsa_system_sgpr_workgroup_id_z 1
		.amdhsa_system_sgpr_workgroup_info 0
		.amdhsa_system_vgpr_workitem_id 0
		.amdhsa_next_free_vgpr 15
		.amdhsa_next_free_sgpr 41
		.amdhsa_accum_offset 16
		.amdhsa_reserve_vcc 1
		.amdhsa_float_round_mode_32 0
		.amdhsa_float_round_mode_16_64 0
		.amdhsa_float_denorm_mode_32 3
		.amdhsa_float_denorm_mode_16_64 3
		.amdhsa_dx10_clamp 1
		.amdhsa_ieee_mode 1
		.amdhsa_fp16_overflow 0
		.amdhsa_tg_split 0
		.amdhsa_exception_fp_ieee_invalid_op 0
		.amdhsa_exception_fp_denorm_src 0
		.amdhsa_exception_fp_ieee_div_zero 0
		.amdhsa_exception_fp_ieee_overflow 0
		.amdhsa_exception_fp_ieee_underflow 0
		.amdhsa_exception_fp_ieee_inexact 0
		.amdhsa_exception_int_div_zero 0
	.end_amdhsa_kernel
	.section	.text._ZN2at6native12_GLOBAL__N_127reflection_pad2d_out_kernelIN3c108BFloat16EEEvPKT_PS5_lliiiiiii,"axG",@progbits,_ZN2at6native12_GLOBAL__N_127reflection_pad2d_out_kernelIN3c108BFloat16EEEvPKT_PS5_lliiiiiii,comdat
.Lfunc_end10:
	.size	_ZN2at6native12_GLOBAL__N_127reflection_pad2d_out_kernelIN3c108BFloat16EEEvPKT_PS5_lliiiiiii, .Lfunc_end10-_ZN2at6native12_GLOBAL__N_127reflection_pad2d_out_kernelIN3c108BFloat16EEEvPKT_PS5_lliiiiiii
                                        ; -- End function
	.set _ZN2at6native12_GLOBAL__N_127reflection_pad2d_out_kernelIN3c108BFloat16EEEvPKT_PS5_lliiiiiii.num_vgpr, 15
	.set _ZN2at6native12_GLOBAL__N_127reflection_pad2d_out_kernelIN3c108BFloat16EEEvPKT_PS5_lliiiiiii.num_agpr, 0
	.set _ZN2at6native12_GLOBAL__N_127reflection_pad2d_out_kernelIN3c108BFloat16EEEvPKT_PS5_lliiiiiii.numbered_sgpr, 41
	.set _ZN2at6native12_GLOBAL__N_127reflection_pad2d_out_kernelIN3c108BFloat16EEEvPKT_PS5_lliiiiiii.num_named_barrier, 0
	.set _ZN2at6native12_GLOBAL__N_127reflection_pad2d_out_kernelIN3c108BFloat16EEEvPKT_PS5_lliiiiiii.private_seg_size, 0
	.set _ZN2at6native12_GLOBAL__N_127reflection_pad2d_out_kernelIN3c108BFloat16EEEvPKT_PS5_lliiiiiii.uses_vcc, 1
	.set _ZN2at6native12_GLOBAL__N_127reflection_pad2d_out_kernelIN3c108BFloat16EEEvPKT_PS5_lliiiiiii.uses_flat_scratch, 0
	.set _ZN2at6native12_GLOBAL__N_127reflection_pad2d_out_kernelIN3c108BFloat16EEEvPKT_PS5_lliiiiiii.has_dyn_sized_stack, 0
	.set _ZN2at6native12_GLOBAL__N_127reflection_pad2d_out_kernelIN3c108BFloat16EEEvPKT_PS5_lliiiiiii.has_recursion, 0
	.set _ZN2at6native12_GLOBAL__N_127reflection_pad2d_out_kernelIN3c108BFloat16EEEvPKT_PS5_lliiiiiii.has_indirect_call, 0
	.section	.AMDGPU.csdata,"",@progbits
; Kernel info:
; codeLenInByte = 1520
; TotalNumSgprs: 47
; NumVgprs: 15
; NumAgprs: 0
; TotalNumVgprs: 15
; ScratchSize: 0
; MemoryBound: 0
; FloatMode: 240
; IeeeMode: 1
; LDSByteSize: 0 bytes/workgroup (compile time only)
; SGPRBlocks: 5
; VGPRBlocks: 1
; NumSGPRsForWavesPerEU: 47
; NumVGPRsForWavesPerEU: 15
; AccumOffset: 16
; Occupancy: 8
; WaveLimiterHint : 0
; COMPUTE_PGM_RSRC2:SCRATCH_EN: 0
; COMPUTE_PGM_RSRC2:USER_SGPR: 2
; COMPUTE_PGM_RSRC2:TRAP_HANDLER: 0
; COMPUTE_PGM_RSRC2:TGID_X_EN: 1
; COMPUTE_PGM_RSRC2:TGID_Y_EN: 1
; COMPUTE_PGM_RSRC2:TGID_Z_EN: 1
; COMPUTE_PGM_RSRC2:TIDIG_COMP_CNT: 0
; COMPUTE_PGM_RSRC3_GFX90A:ACCUM_OFFSET: 3
; COMPUTE_PGM_RSRC3_GFX90A:TG_SPLIT: 0
	.section	.text._ZN2at6native12_GLOBAL__N_140reflection_pad2d_backward_det_out_kernelIdEEvPT_PKS3_lliiiiiii,"axG",@progbits,_ZN2at6native12_GLOBAL__N_140reflection_pad2d_backward_det_out_kernelIdEEvPT_PKS3_lliiiiiii,comdat
	.globl	_ZN2at6native12_GLOBAL__N_140reflection_pad2d_backward_det_out_kernelIdEEvPT_PKS3_lliiiiiii ; -- Begin function _ZN2at6native12_GLOBAL__N_140reflection_pad2d_backward_det_out_kernelIdEEvPT_PKS3_lliiiiiii
	.p2align	8
	.type	_ZN2at6native12_GLOBAL__N_140reflection_pad2d_backward_det_out_kernelIdEEvPT_PKS3_lliiiiiii,@function
_ZN2at6native12_GLOBAL__N_140reflection_pad2d_backward_det_out_kernelIdEEvPT_PKS3_lliiiiiii: ; @_ZN2at6native12_GLOBAL__N_140reflection_pad2d_backward_det_out_kernelIdEEvPT_PKS3_lliiiiiii
; %bb.0:
	s_load_dword s3, s[0:1], 0x4c
	s_load_dwordx2 s[12:13], s[0:1], 0x30
	s_load_dwordx8 s[4:11], s[0:1], 0x0
	s_add_u32 s20, s0, 64
	s_addc_u32 s21, s1, 0
	s_waitcnt lgkmcnt(0)
	s_and_b32 s3, s3, 0xffff
	s_mul_i32 s2, s2, s3
	s_mul_i32 s14, s10, s9
	s_mul_hi_u32 s15, s10, s8
	v_add_u32_e32 v0, s2, v0
	s_ashr_i32 s2, s12, 31
	s_add_i32 s33, s15, s14
	s_mul_i32 s14, s11, s8
	s_mul_i32 s54, s10, s8
	s_add_i32 s33, s33, s14
	s_mul_i32 s2, s54, s2
	s_mul_hi_u32 s15, s54, s12
	s_ashr_i32 s17, s13, 31
	s_mul_i32 s14, s33, s12
	s_add_i32 s2, s15, s2
	s_mul_i32 s12, s54, s12
	s_add_i32 s2, s2, s14
	s_mul_i32 s14, s12, s17
	s_mul_hi_u32 s15, s12, s13
	v_mov_b32_e32 v2, 0
	s_mul_i32 s2, s2, s13
	s_add_i32 s14, s15, s14
	v_mov_b32_e32 v1, v2
	s_add_i32 s19, s14, s2
	s_mul_i32 s18, s12, s13
	s_mov_b32 s16, s13
	v_cmp_gt_i64_e32 vcc, s[18:19], v[0:1]
	s_and_saveexec_b64 s[12:13], vcc
	s_cbranch_execz .LBB11_53
; %bb.1:
	s_load_dwordx4 s[12:15], s[0:1], 0x20
	s_load_dword s2, s[20:21], 0x0
	s_mul_i32 s58, s54, s16
	v_cvt_f32_u32_e32 v3, s58
	v_sub_co_u32_e32 v4, vcc, 0, v0
	s_waitcnt lgkmcnt(0)
	s_ashr_i32 s21, s14, 31
	s_add_u32 s30, s8, s14
	s_addc_u32 s31, s9, s21
	s_ashr_i32 s1, s15, 31
	s_add_u32 s55, s30, s15
	s_addc_u32 s56, s31, s1
	s_ashr_i32 s23, s12, 31
	s_mov_b32 s0, s15
	s_add_u32 s15, s10, s12
	s_addc_u32 s24, s11, s23
	s_ashr_i32 s35, s13, 31
	s_mov_b32 s34, s13
	s_add_u32 s13, s15, s13
	s_addc_u32 s15, s24, s35
	s_mul_i32 s15, s55, s15
	s_mul_hi_u32 s24, s55, s13
	s_add_i32 s15, s24, s15
	s_mul_i32 s24, s56, s13
	s_add_i32 s25, s15, s24
	s_add_u32 s28, s8, -1
	s_addc_u32 s29, s9, -1
	s_mul_i32 s24, s55, s13
	s_mul_hi_u32 s27, s3, s2
	s_mul_i32 s26, s3, s2
	s_add_u32 s13, s30, s28
	s_mul_i32 s2, s54, s17
	s_mul_hi_u32 s3, s54, s16
	s_addc_u32 s15, s31, s29
	s_add_i32 s2, s3, s2
	s_mul_i32 s3, s33, s16
	s_add_i32 s57, s2, s3
	s_add_u32 s30, s10, -1
	s_addc_u32 s31, s11, -1
	s_not_b64 s[2:3], s[34:35]
	s_add_u32 s34, s10, s2
	s_addc_u32 s35, s11, s3
	s_not_b64 s[0:1], s[0:1]
	s_add_u32 s36, s8, s0
	s_addc_u32 s37, s9, s1
	s_mul_i32 s0, s24, s17
	s_mul_hi_u32 s1, s24, s16
	s_add_i32 s0, s1, s0
	s_mul_i32 s1, s25, s16
	s_add_i32 s59, s0, s1
	s_add_u32 s61, s13, -1
	s_addc_u32 s62, s15, -1
	s_lshl_b64 s[0:1], s[30:31], 1
	s_add_u32 s63, s0, s12
	s_addc_u32 s64, s1, s23
	s_lshl_b64 s[0:1], s[28:29], 1
	v_rcp_iflag_f32_e32 v3, v3
	s_mov_b32 s22, s12
	s_add_u32 s12, s0, s14
	s_addc_u32 s13, s1, s21
	s_mov_b32 s20, s14
	s_sub_u32 s65, 0, s10
	v_subb_co_u32_e64 v5, s[0:1], 0, 0, vcc
	s_subb_u32 s66, 0, s11
	s_lshl_b64 s[38:39], s[16:17], 3
	s_lshl_b64 s[40:41], s[8:9], 3
	;; [unrolled: 1-line block ×3, first 2 shown]
	v_mul_f32_e32 v3, 0x4f7ffffe, v3
	s_add_u32 s42, s6, s0
	v_cvt_u32_f32_e32 v26, v3
	s_addc_u32 s43, s7, s1
	s_lshl_b64 s[44:45], s[26:27], 3
	s_sub_u32 s67, 0, s54
	s_mul_i32 s60, s24, s16
	s_mov_b64 s[14:15], 0
	v_lshlrev_b64 v[6:7], 3, v[0:1]
	s_subb_u32 s68, 0, s33
	s_branch .LBB11_4
.LBB11_2:                               ;   in Loop: Header=BB11_4 Depth=1
	s_or_b64 exec, exec, s[0:1]
.LBB11_3:                               ;   in Loop: Header=BB11_4 Depth=1
	s_or_b64 exec, exec, s[46:47]
	v_lshlrev_b64 v[10:11], 3, v[12:13]
	v_mul_lo_u32 v12, s38, v9
	v_mul_lo_u32 v13, s39, v8
	v_mad_u64_u32 v[8:9], s[0:1], s38, v8, v[10:11]
	v_add3_u32 v9, v13, v9, v12
	v_mul_lo_u32 v12, s41, v3
	v_mul_lo_u32 v13, s40, v27
	v_mad_u64_u32 v[10:11], s[0:1], s40, v3, 0
	v_add3_u32 v11, v11, v13, v12
	v_mul_lo_u32 v3, s24, v9
	v_mad_u64_u32 v[10:11], s[0:1], s24, v8, v[10:11]
	v_mul_lo_u32 v8, s25, v8
	v_add3_u32 v11, v8, v11, v3
	v_lshl_add_u64 v[8:9], v[20:21], 3, v[10:11]
	v_lshl_add_u64 v[8:9], v[6:7], 0, v[8:9]
	v_lshl_add_u64 v[8:9], s[42:43], 0, v[8:9]
	global_load_dwordx2 v[8:9], v[8:9], off
	v_lshl_add_u64 v[10:11], s[4:5], 0, v[6:7]
	global_load_dwordx2 v[12:13], v[10:11], off
	v_mov_b32_e32 v3, s27
	v_subrev_co_u32_e32 v4, vcc, s26, v4
	v_lshl_add_u64 v[0:1], v[0:1], 0, s[26:27]
	s_nop 0
	v_subb_co_u32_e32 v5, vcc, v5, v3, vcc
	v_cmp_le_i64_e32 vcc, s[18:19], v[0:1]
	s_or_b64 s[14:15], vcc, s[14:15]
	v_lshl_add_u64 v[6:7], v[6:7], 0, s[44:45]
	s_waitcnt vmcnt(1)
	v_add_f64 v[8:9], v[16:17], v[8:9]
	s_waitcnt vmcnt(0)
	v_add_f64 v[8:9], v[12:13], v[8:9]
	global_store_dwordx2 v[10:11], v[8:9], off
	s_andn2_b64 exec, exec, s[14:15]
	s_cbranch_execz .LBB11_53
.LBB11_4:                               ; =>This Inner Loop Header: Depth=1
	v_or_b32_e32 v3, s57, v1
	v_cmp_ne_u64_e32 vcc, 0, v[2:3]
	v_ashrrev_i32_e32 v12, 31, v1
                                        ; implicit-def: $vgpr8_vgpr9
	s_and_saveexec_b64 s[0:1], vcc
	s_xor_b64 s[2:3], exec, s[0:1]
	s_cbranch_execz .LBB11_6
; %bb.5:                                ;   in Loop: Header=BB11_4 Depth=1
	s_ashr_i32 s46, s57, 31
	s_add_u32 s0, s58, s46
	s_mov_b32 s47, s46
	s_addc_u32 s1, s57, s46
	s_xor_b64 s[48:49], s[0:1], s[46:47]
	v_cvt_f32_u32_e32 v3, s48
	v_cvt_f32_u32_e32 v8, s49
	s_sub_u32 s47, 0, s48
	s_subb_u32 s50, 0, s49
	v_mov_b32_e32 v13, v12
	v_fmac_f32_e32 v3, 0x4f800000, v8
	v_rcp_f32_e32 v3, v3
	v_mov_b32_e32 v11, v2
	v_mul_f32_e32 v3, 0x5f7ffffc, v3
	v_mul_f32_e32 v8, 0x2f800000, v3
	v_trunc_f32_e32 v8, v8
	v_fmac_f32_e32 v3, 0xcf800000, v8
	v_cvt_u32_f32_e32 v8, v8
	v_cvt_u32_f32_e32 v3, v3
	v_readfirstlane_b32 s51, v8
	v_readfirstlane_b32 s0, v3
	s_mul_i32 s1, s47, s51
	s_mul_hi_u32 s53, s47, s0
	s_mul_i32 s52, s50, s0
	s_add_i32 s1, s53, s1
	s_add_i32 s1, s1, s52
	s_mul_i32 s69, s47, s0
	s_mul_i32 s53, s0, s1
	s_mul_hi_u32 s70, s0, s69
	s_mul_hi_u32 s52, s0, s1
	s_add_u32 s53, s70, s53
	s_addc_u32 s52, 0, s52
	s_mul_hi_u32 s71, s51, s69
	s_mul_i32 s69, s51, s69
	s_add_u32 s53, s53, s69
	s_mul_hi_u32 s70, s51, s1
	s_addc_u32 s52, s52, s71
	s_addc_u32 s53, s70, 0
	s_mul_i32 s1, s51, s1
	s_add_u32 s1, s52, s1
	s_addc_u32 s52, 0, s53
	s_add_u32 s53, s0, s1
	s_cselect_b64 s[0:1], -1, 0
	s_cmp_lg_u64 s[0:1], 0
	s_addc_u32 s51, s51, s52
	s_mul_i32 s0, s47, s51
	s_mul_hi_u32 s1, s47, s53
	s_add_i32 s0, s1, s0
	s_mul_i32 s50, s50, s53
	s_add_i32 s0, s0, s50
	s_mul_i32 s47, s47, s53
	s_mul_hi_u32 s50, s51, s47
	s_mul_i32 s52, s51, s47
	s_mul_i32 s70, s53, s0
	s_mul_hi_u32 s47, s53, s47
	s_mul_hi_u32 s69, s53, s0
	s_add_u32 s47, s47, s70
	s_addc_u32 s69, 0, s69
	s_add_u32 s47, s47, s52
	s_mul_hi_u32 s1, s51, s0
	s_addc_u32 s47, s69, s50
	s_addc_u32 s1, s1, 0
	s_mul_i32 s0, s51, s0
	s_add_u32 s0, s47, s0
	s_addc_u32 s47, 0, s1
	s_add_u32 s50, s53, s0
	s_cselect_b64 s[0:1], -1, 0
	s_cmp_lg_u64 s[0:1], 0
	v_lshl_add_u64 v[8:9], v[0:1], 0, v[12:13]
	s_addc_u32 s47, s51, s47
	v_xor_b32_e32 v13, v8, v12
	v_xor_b32_e32 v3, v9, v12
	v_mad_u64_u32 v[8:9], s[0:1], v13, s47, 0
	v_mul_hi_u32 v10, v13, s50
	v_lshl_add_u64 v[8:9], v[10:11], 0, v[8:9]
	v_mad_u64_u32 v[14:15], s[0:1], v3, s50, 0
	v_add_co_u32_e32 v8, vcc, v8, v14
	v_mad_u64_u32 v[10:11], s[0:1], v3, s47, 0
	s_nop 0
	v_addc_co_u32_e32 v8, vcc, v9, v15, vcc
	v_mov_b32_e32 v9, v2
	s_nop 0
	v_addc_co_u32_e32 v11, vcc, 0, v11, vcc
	v_lshl_add_u64 v[8:9], v[8:9], 0, v[10:11]
	v_mul_lo_u32 v14, s49, v8
	v_mul_lo_u32 v15, s48, v9
	v_mad_u64_u32 v[10:11], s[0:1], s48, v8, 0
	v_add3_u32 v16, v11, v15, v14
	v_sub_u32_e32 v11, v3, v16
	v_mov_b32_e32 v14, s49
	v_sub_co_u32_e32 v13, vcc, v13, v10
	s_nop 1
	v_subb_co_u32_e64 v10, s[0:1], v11, v14, vcc
	v_subrev_co_u32_e64 v11, s[0:1], s48, v13
	v_subb_co_u32_e32 v3, vcc, v3, v16, vcc
	s_nop 0
	v_subbrev_co_u32_e64 v10, s[0:1], 0, v10, s[0:1]
	v_cmp_le_u32_e64 s[0:1], s49, v10
	v_cmp_le_u32_e32 vcc, s49, v3
	s_nop 0
	v_cndmask_b32_e64 v14, 0, -1, s[0:1]
	v_cmp_le_u32_e64 s[0:1], s48, v11
	s_nop 1
	v_cndmask_b32_e64 v11, 0, -1, s[0:1]
	v_cmp_eq_u32_e64 s[0:1], s49, v10
	s_nop 1
	v_cndmask_b32_e64 v17, v14, v11, s[0:1]
	v_lshl_add_u64 v[10:11], v[8:9], 0, 2
	v_lshl_add_u64 v[14:15], v[8:9], 0, 1
	v_cmp_ne_u32_e64 s[0:1], 0, v17
	s_nop 1
	v_cndmask_b32_e64 v11, v15, v11, s[0:1]
	v_cndmask_b32_e64 v15, 0, -1, vcc
	v_cmp_le_u32_e32 vcc, s48, v13
	s_nop 1
	v_cndmask_b32_e64 v13, 0, -1, vcc
	v_cmp_eq_u32_e32 vcc, s49, v3
	s_nop 1
	v_cndmask_b32_e32 v3, v15, v13, vcc
	v_cmp_ne_u32_e32 vcc, 0, v3
	s_nop 1
	v_cndmask_b32_e32 v3, v9, v11, vcc
	v_cndmask_b32_e64 v9, v14, v10, s[0:1]
	v_cndmask_b32_e32 v8, v8, v9, vcc
	v_xor_b32_e32 v9, s46, v12
	v_xor_b32_e32 v8, v8, v9
	;; [unrolled: 1-line block ×3, first 2 shown]
	v_sub_co_u32_e32 v8, vcc, v8, v9
	s_nop 1
	v_subb_co_u32_e32 v9, vcc, v3, v9, vcc
.LBB11_6:                               ;   in Loop: Header=BB11_4 Depth=1
	s_andn2_saveexec_b64 s[0:1], s[2:3]
	s_cbranch_execz .LBB11_8
; %bb.7:                                ;   in Loop: Header=BB11_4 Depth=1
	s_sub_i32 s2, 0, s58
	v_mul_lo_u32 v3, s2, v26
	v_mul_hi_u32 v3, v26, v3
	v_add_u32_e32 v3, v26, v3
	v_mul_hi_u32 v3, v0, v3
	v_mul_lo_u32 v8, v3, s58
	v_sub_u32_e32 v8, v0, v8
	v_subrev_u32_e32 v9, s58, v8
	v_cmp_le_u32_e32 vcc, s58, v8
	s_nop 1
	v_cndmask_b32_e32 v8, v8, v9, vcc
	v_add_u32_e32 v9, 1, v3
	v_cndmask_b32_e32 v3, v3, v9, vcc
	v_add_u32_e32 v9, 1, v3
	v_cmp_le_u32_e32 vcc, s58, v8
	s_nop 1
	v_cndmask_b32_e32 v8, v3, v9, vcc
	v_mov_b32_e32 v9, v2
.LBB11_8:                               ;   in Loop: Header=BB11_4 Depth=1
	s_or_b64 exec, exec, s[0:1]
	v_or_b32_e32 v3, s33, v1
	v_cmp_ne_u64_e32 vcc, 0, v[2:3]
                                        ; implicit-def: $vgpr10_vgpr11
	s_and_saveexec_b64 s[0:1], vcc
	s_xor_b64 s[2:3], exec, s[0:1]
	s_cbranch_execz .LBB11_10
; %bb.9:                                ;   in Loop: Header=BB11_4 Depth=1
	s_ashr_i32 s46, s33, 31
	s_add_u32 s0, s54, s46
	s_mov_b32 s47, s46
	s_addc_u32 s1, s33, s46
	s_xor_b64 s[48:49], s[0:1], s[46:47]
	v_cvt_f32_u32_e32 v3, s48
	v_cvt_f32_u32_e32 v10, s49
	s_sub_u32 s47, 0, s48
	s_subb_u32 s50, 0, s49
	v_mov_b32_e32 v13, v12
	v_fmac_f32_e32 v3, 0x4f800000, v10
	v_rcp_f32_e32 v3, v3
	v_mov_b32_e32 v15, v2
	v_mul_f32_e32 v3, 0x5f7ffffc, v3
	v_mul_f32_e32 v10, 0x2f800000, v3
	v_trunc_f32_e32 v10, v10
	v_fmac_f32_e32 v3, 0xcf800000, v10
	v_cvt_u32_f32_e32 v10, v10
	v_cvt_u32_f32_e32 v3, v3
	v_readfirstlane_b32 s51, v10
	v_readfirstlane_b32 s0, v3
	s_mul_i32 s1, s47, s51
	s_mul_hi_u32 s53, s47, s0
	s_mul_i32 s52, s50, s0
	s_add_i32 s1, s53, s1
	s_add_i32 s1, s1, s52
	s_mul_i32 s69, s47, s0
	s_mul_i32 s53, s0, s1
	s_mul_hi_u32 s70, s0, s69
	s_mul_hi_u32 s52, s0, s1
	s_add_u32 s53, s70, s53
	s_addc_u32 s52, 0, s52
	s_mul_hi_u32 s71, s51, s69
	s_mul_i32 s69, s51, s69
	s_add_u32 s53, s53, s69
	s_mul_hi_u32 s70, s51, s1
	s_addc_u32 s52, s52, s71
	s_addc_u32 s53, s70, 0
	s_mul_i32 s1, s51, s1
	s_add_u32 s1, s52, s1
	s_addc_u32 s52, 0, s53
	s_add_u32 s53, s0, s1
	s_cselect_b64 s[0:1], -1, 0
	s_cmp_lg_u64 s[0:1], 0
	s_addc_u32 s51, s51, s52
	s_mul_i32 s0, s47, s51
	s_mul_hi_u32 s1, s47, s53
	s_add_i32 s0, s1, s0
	s_mul_i32 s50, s50, s53
	s_add_i32 s0, s0, s50
	s_mul_i32 s47, s47, s53
	s_mul_hi_u32 s50, s51, s47
	s_mul_i32 s52, s51, s47
	s_mul_i32 s70, s53, s0
	s_mul_hi_u32 s47, s53, s47
	s_mul_hi_u32 s69, s53, s0
	s_add_u32 s47, s47, s70
	s_addc_u32 s69, 0, s69
	s_add_u32 s47, s47, s52
	s_mul_hi_u32 s1, s51, s0
	s_addc_u32 s47, s69, s50
	s_addc_u32 s1, s1, 0
	s_mul_i32 s0, s51, s0
	s_add_u32 s0, s47, s0
	s_addc_u32 s47, 0, s1
	s_add_u32 s50, s53, s0
	s_cselect_b64 s[0:1], -1, 0
	s_cmp_lg_u64 s[0:1], 0
	v_lshl_add_u64 v[10:11], v[0:1], 0, v[12:13]
	s_addc_u32 s47, s51, s47
	v_xor_b32_e32 v13, v10, v12
	v_xor_b32_e32 v3, v11, v12
	v_mad_u64_u32 v[10:11], s[0:1], v13, s47, 0
	v_mul_hi_u32 v14, v13, s50
	v_lshl_add_u64 v[10:11], v[14:15], 0, v[10:11]
	v_mad_u64_u32 v[16:17], s[0:1], v3, s50, 0
	v_add_co_u32_e32 v10, vcc, v10, v16
	v_mad_u64_u32 v[14:15], s[0:1], v3, s47, 0
	s_nop 0
	v_addc_co_u32_e32 v10, vcc, v11, v17, vcc
	v_mov_b32_e32 v11, v2
	s_nop 0
	v_addc_co_u32_e32 v15, vcc, 0, v15, vcc
	v_lshl_add_u64 v[10:11], v[10:11], 0, v[14:15]
	v_mul_lo_u32 v16, s49, v10
	v_mul_lo_u32 v17, s48, v11
	v_mad_u64_u32 v[14:15], s[0:1], s48, v10, 0
	v_add3_u32 v18, v15, v17, v16
	v_sub_u32_e32 v15, v3, v18
	v_mov_b32_e32 v16, s49
	v_sub_co_u32_e32 v13, vcc, v13, v14
	s_nop 1
	v_subb_co_u32_e64 v14, s[0:1], v15, v16, vcc
	v_subrev_co_u32_e64 v15, s[0:1], s48, v13
	v_subb_co_u32_e32 v3, vcc, v3, v18, vcc
	s_nop 0
	v_subbrev_co_u32_e64 v14, s[0:1], 0, v14, s[0:1]
	v_cmp_le_u32_e64 s[0:1], s49, v14
	v_cmp_le_u32_e32 vcc, s49, v3
	s_nop 0
	v_cndmask_b32_e64 v16, 0, -1, s[0:1]
	v_cmp_le_u32_e64 s[0:1], s48, v15
	s_nop 1
	v_cndmask_b32_e64 v15, 0, -1, s[0:1]
	v_cmp_eq_u32_e64 s[0:1], s49, v14
	s_nop 1
	v_cndmask_b32_e64 v19, v16, v15, s[0:1]
	v_lshl_add_u64 v[14:15], v[10:11], 0, 2
	v_lshl_add_u64 v[16:17], v[10:11], 0, 1
	v_cmp_ne_u32_e64 s[0:1], 0, v19
	s_nop 1
	v_cndmask_b32_e64 v15, v17, v15, s[0:1]
	v_cndmask_b32_e64 v17, 0, -1, vcc
	v_cmp_le_u32_e32 vcc, s48, v13
	s_nop 1
	v_cndmask_b32_e64 v13, 0, -1, vcc
	v_cmp_eq_u32_e32 vcc, s49, v3
	s_nop 1
	v_cndmask_b32_e32 v3, v17, v13, vcc
	v_cmp_ne_u32_e32 vcc, 0, v3
	s_nop 1
	v_cndmask_b32_e32 v3, v11, v15, vcc
	v_cndmask_b32_e64 v11, v16, v14, s[0:1]
	v_cndmask_b32_e32 v10, v10, v11, vcc
	v_xor_b32_e32 v11, s46, v12
	v_xor_b32_e32 v10, v10, v11
	;; [unrolled: 1-line block ×3, first 2 shown]
	v_sub_co_u32_e32 v10, vcc, v10, v11
	s_nop 1
	v_subb_co_u32_e32 v11, vcc, v3, v11, vcc
.LBB11_10:                              ;   in Loop: Header=BB11_4 Depth=1
	s_andn2_saveexec_b64 s[0:1], s[2:3]
	s_cbranch_execz .LBB11_12
; %bb.11:                               ;   in Loop: Header=BB11_4 Depth=1
	v_cvt_f32_u32_e32 v3, s54
	s_sub_i32 s2, 0, s54
	v_rcp_iflag_f32_e32 v3, v3
	s_nop 0
	v_mul_f32_e32 v3, 0x4f7ffffe, v3
	v_cvt_u32_f32_e32 v3, v3
	v_mul_lo_u32 v10, s2, v3
	v_mul_hi_u32 v10, v3, v10
	v_add_u32_e32 v3, v3, v10
	v_mul_hi_u32 v3, v0, v3
	v_mul_lo_u32 v10, v3, s54
	v_sub_u32_e32 v10, v0, v10
	v_add_u32_e32 v11, 1, v3
	v_subrev_u32_e32 v12, s54, v10
	v_cmp_le_u32_e32 vcc, s54, v10
	s_nop 1
	v_cndmask_b32_e32 v10, v10, v12, vcc
	v_cndmask_b32_e32 v3, v3, v11, vcc
	v_add_u32_e32 v11, 1, v3
	v_cmp_le_u32_e32 vcc, s54, v10
	s_nop 1
	v_cndmask_b32_e32 v10, v3, v11, vcc
	v_mov_b32_e32 v11, v2
.LBB11_12:                              ;   in Loop: Header=BB11_4 Depth=1
	s_or_b64 exec, exec, s[0:1]
	v_or_b32_e32 v3, s17, v11
	v_cmp_ne_u64_e32 vcc, 0, v[2:3]
                                        ; implicit-def: $vgpr12_vgpr13
	s_and_saveexec_b64 s[0:1], vcc
	s_xor_b64 s[46:47], exec, s[0:1]
	s_cbranch_execz .LBB11_14
; %bb.13:                               ;   in Loop: Header=BB11_4 Depth=1
	s_ashr_i32 s0, s17, 31
	s_add_u32 s2, s16, s0
	s_mov_b32 s1, s0
	s_addc_u32 s3, s17, s0
	s_xor_b64 s[48:49], s[2:3], s[0:1]
	v_cvt_f32_u32_e32 v3, s48
	v_cvt_f32_u32_e32 v12, s49
	s_sub_u32 s2, 0, s48
	s_subb_u32 s3, 0, s49
	v_ashrrev_i32_e32 v14, 31, v11
	v_fmac_f32_e32 v3, 0x4f800000, v12
	v_rcp_f32_e32 v3, v3
	v_mov_b32_e32 v15, v14
	v_mov_b32_e32 v17, v2
	v_mul_f32_e32 v3, 0x5f7ffffc, v3
	v_mul_f32_e32 v12, 0x2f800000, v3
	v_trunc_f32_e32 v12, v12
	v_fmac_f32_e32 v3, 0xcf800000, v12
	v_cvt_u32_f32_e32 v12, v12
	v_cvt_u32_f32_e32 v3, v3
	v_readfirstlane_b32 s50, v12
	v_readfirstlane_b32 s0, v3
	s_mul_i32 s1, s2, s50
	s_mul_hi_u32 s52, s2, s0
	s_mul_i32 s51, s3, s0
	s_add_i32 s1, s52, s1
	s_add_i32 s1, s1, s51
	s_mul_i32 s53, s2, s0
	s_mul_i32 s52, s0, s1
	s_mul_hi_u32 s69, s0, s53
	s_mul_hi_u32 s51, s0, s1
	s_add_u32 s52, s69, s52
	s_addc_u32 s51, 0, s51
	s_mul_hi_u32 s70, s50, s53
	s_mul_i32 s53, s50, s53
	s_add_u32 s52, s52, s53
	s_mul_hi_u32 s69, s50, s1
	s_addc_u32 s51, s51, s70
	s_addc_u32 s52, s69, 0
	s_mul_i32 s1, s50, s1
	s_add_u32 s1, s51, s1
	s_addc_u32 s51, 0, s52
	s_add_u32 s52, s0, s1
	s_cselect_b64 s[0:1], -1, 0
	s_cmp_lg_u64 s[0:1], 0
	s_addc_u32 s50, s50, s51
	s_mul_i32 s0, s2, s50
	s_mul_hi_u32 s1, s2, s52
	s_add_i32 s0, s1, s0
	s_mul_i32 s3, s3, s52
	s_add_i32 s0, s0, s3
	s_mul_i32 s2, s2, s52
	s_mul_hi_u32 s3, s50, s2
	s_mul_i32 s51, s50, s2
	s_mul_i32 s69, s52, s0
	s_mul_hi_u32 s2, s52, s2
	s_mul_hi_u32 s53, s52, s0
	s_add_u32 s2, s2, s69
	s_addc_u32 s53, 0, s53
	s_add_u32 s2, s2, s51
	s_mul_hi_u32 s1, s50, s0
	s_addc_u32 s2, s53, s3
	s_addc_u32 s1, s1, 0
	s_mul_i32 s0, s50, s0
	s_add_u32 s0, s2, s0
	s_addc_u32 s2, 0, s1
	s_add_u32 s3, s52, s0
	s_cselect_b64 s[0:1], -1, 0
	s_cmp_lg_u64 s[0:1], 0
	v_lshl_add_u64 v[12:13], v[10:11], 0, v[14:15]
	s_addc_u32 s2, s50, s2
	v_xor_b32_e32 v15, v12, v14
	v_xor_b32_e32 v3, v13, v14
	v_mad_u64_u32 v[12:13], s[0:1], v15, s2, 0
	v_mul_hi_u32 v16, v15, s3
	v_lshl_add_u64 v[12:13], v[16:17], 0, v[12:13]
	v_mad_u64_u32 v[18:19], s[0:1], v3, s3, 0
	v_add_co_u32_e32 v12, vcc, v12, v18
	v_mad_u64_u32 v[16:17], s[0:1], v3, s2, 0
	s_nop 0
	v_addc_co_u32_e32 v12, vcc, v13, v19, vcc
	v_mov_b32_e32 v13, v2
	s_nop 0
	v_addc_co_u32_e32 v17, vcc, 0, v17, vcc
	v_lshl_add_u64 v[12:13], v[12:13], 0, v[16:17]
	v_mul_lo_u32 v16, s49, v12
	v_mul_lo_u32 v17, s48, v13
	v_mad_u64_u32 v[12:13], s[0:1], s48, v12, 0
	v_add3_u32 v13, v13, v17, v16
	v_sub_u32_e32 v16, v3, v13
	v_mov_b32_e32 v17, s49
	v_sub_co_u32_e32 v12, vcc, v15, v12
	s_nop 1
	v_subb_co_u32_e64 v15, s[0:1], v16, v17, vcc
	v_subrev_co_u32_e64 v16, s[0:1], s48, v12
	v_subb_co_u32_e32 v3, vcc, v3, v13, vcc
	s_nop 0
	v_subbrev_co_u32_e64 v18, s[2:3], 0, v15, s[0:1]
	v_cmp_le_u32_e64 s[2:3], s49, v18
	v_subb_co_u32_e64 v15, s[0:1], v15, v17, s[0:1]
	s_nop 0
	v_cndmask_b32_e64 v19, 0, -1, s[2:3]
	v_cmp_le_u32_e64 s[2:3], s48, v16
	v_subrev_co_u32_e64 v17, s[0:1], s48, v16
	s_nop 0
	v_cndmask_b32_e64 v20, 0, -1, s[2:3]
	v_cmp_eq_u32_e64 s[2:3], s49, v18
	v_subbrev_co_u32_e64 v15, s[0:1], 0, v15, s[0:1]
	s_nop 0
	v_cndmask_b32_e64 v19, v19, v20, s[2:3]
	v_cmp_le_u32_e32 vcc, s49, v3
	v_cmp_ne_u32_e64 s[0:1], 0, v19
	s_nop 0
	v_cndmask_b32_e64 v13, 0, -1, vcc
	v_cmp_le_u32_e32 vcc, s48, v12
	v_cndmask_b32_e64 v15, v18, v15, s[0:1]
	s_nop 0
	v_cndmask_b32_e64 v18, 0, -1, vcc
	v_cmp_eq_u32_e32 vcc, s49, v3
	s_nop 1
	v_cndmask_b32_e32 v13, v13, v18, vcc
	v_cmp_ne_u32_e32 vcc, 0, v13
	v_cndmask_b32_e64 v13, v16, v17, s[0:1]
	s_nop 0
	v_cndmask_b32_e32 v12, v12, v13, vcc
	v_cndmask_b32_e32 v3, v3, v15, vcc
	v_xor_b32_e32 v12, v12, v14
	v_xor_b32_e32 v3, v3, v14
	v_sub_co_u32_e32 v12, vcc, v12, v14
	s_nop 1
	v_subb_co_u32_e32 v13, vcc, v3, v14, vcc
.LBB11_14:                              ;   in Loop: Header=BB11_4 Depth=1
	s_andn2_saveexec_b64 s[0:1], s[46:47]
	s_cbranch_execz .LBB11_16
; %bb.15:                               ;   in Loop: Header=BB11_4 Depth=1
	v_cvt_f32_u32_e32 v3, s16
	s_sub_i32 s2, 0, s16
	v_mov_b32_e32 v13, v2
	v_rcp_iflag_f32_e32 v3, v3
	s_nop 0
	v_mul_f32_e32 v3, 0x4f7ffffe, v3
	v_cvt_u32_f32_e32 v3, v3
	v_mul_lo_u32 v12, s2, v3
	v_mul_hi_u32 v12, v3, v12
	v_add_u32_e32 v3, v3, v12
	v_mul_hi_u32 v3, v10, v3
	v_mul_lo_u32 v3, v3, s16
	v_sub_u32_e32 v3, v10, v3
	v_subrev_u32_e32 v12, s16, v3
	v_cmp_le_u32_e32 vcc, s16, v3
	s_nop 1
	v_cndmask_b32_e32 v3, v3, v12, vcc
	v_subrev_u32_e32 v12, s16, v3
	v_cmp_le_u32_e32 vcc, s16, v3
	s_nop 1
	v_cndmask_b32_e32 v12, v3, v12, vcc
.LBB11_16:                              ;   in Loop: Header=BB11_4 Depth=1
	s_or_b64 exec, exec, s[0:1]
	v_mad_u64_u32 v[16:17], s[0:1], s67, v10, v[0:1]
	v_mul_lo_u32 v3, s67, v11
	v_mul_lo_u32 v14, s68, v10
	v_add3_u32 v17, v14, v17, v3
	v_or_b32_e32 v3, s9, v17
	v_cmp_ne_u64_e32 vcc, 0, v[2:3]
                                        ; implicit-def: $vgpr14_vgpr15
	s_and_saveexec_b64 s[0:1], vcc
	s_xor_b64 s[2:3], exec, s[0:1]
	s_cbranch_execz .LBB11_18
; %bb.17:                               ;   in Loop: Header=BB11_4 Depth=1
	s_ashr_i32 s46, s9, 31
	s_add_u32 s0, s8, s46
	s_mov_b32 s47, s46
	s_addc_u32 s1, s9, s46
	s_xor_b64 s[48:49], s[0:1], s[46:47]
	v_cvt_f32_u32_e32 v3, s48
	v_cvt_f32_u32_e32 v14, s49
	s_sub_u32 s47, 0, s48
	s_subb_u32 s50, 0, s49
	v_mov_b32_e32 v19, v2
	v_fmac_f32_e32 v3, 0x4f800000, v14
	v_rcp_f32_e32 v3, v3
	s_nop 0
	v_mul_f32_e32 v3, 0x5f7ffffc, v3
	v_mul_f32_e32 v14, 0x2f800000, v3
	v_trunc_f32_e32 v14, v14
	v_fmac_f32_e32 v3, 0xcf800000, v14
	v_cvt_u32_f32_e32 v14, v14
	v_cvt_u32_f32_e32 v3, v3
	v_readfirstlane_b32 s51, v14
	v_readfirstlane_b32 s0, v3
	s_mul_i32 s1, s47, s51
	s_mul_hi_u32 s53, s47, s0
	s_mul_i32 s52, s50, s0
	s_add_i32 s1, s53, s1
	s_add_i32 s1, s1, s52
	s_mul_i32 s69, s47, s0
	s_mul_i32 s53, s0, s1
	s_mul_hi_u32 s70, s0, s69
	s_mul_hi_u32 s52, s0, s1
	s_add_u32 s53, s70, s53
	s_addc_u32 s52, 0, s52
	s_mul_hi_u32 s71, s51, s69
	s_mul_i32 s69, s51, s69
	s_add_u32 s53, s53, s69
	s_mul_hi_u32 s70, s51, s1
	s_addc_u32 s52, s52, s71
	s_addc_u32 s53, s70, 0
	s_mul_i32 s1, s51, s1
	s_add_u32 s1, s52, s1
	s_addc_u32 s52, 0, s53
	s_add_u32 s53, s0, s1
	s_cselect_b64 s[0:1], -1, 0
	s_cmp_lg_u64 s[0:1], 0
	s_addc_u32 s51, s51, s52
	s_mul_i32 s0, s47, s51
	s_mul_hi_u32 s1, s47, s53
	s_add_i32 s0, s1, s0
	s_mul_i32 s50, s50, s53
	s_add_i32 s0, s0, s50
	s_mul_i32 s47, s47, s53
	s_mul_hi_u32 s50, s51, s47
	s_mul_i32 s52, s51, s47
	s_mul_i32 s70, s53, s0
	s_mul_hi_u32 s47, s53, s47
	s_mul_hi_u32 s69, s53, s0
	s_add_u32 s47, s47, s70
	s_addc_u32 s69, 0, s69
	s_add_u32 s47, s47, s52
	s_mul_hi_u32 s1, s51, s0
	s_addc_u32 s47, s69, s50
	s_addc_u32 s1, s1, 0
	s_mul_i32 s0, s51, s0
	s_add_u32 s0, s47, s0
	s_addc_u32 s47, 0, s1
	s_add_u32 s50, s53, s0
	v_ashrrev_i32_e32 v14, 31, v17
	s_cselect_b64 s[0:1], -1, 0
	v_mov_b32_e32 v15, v14
	s_cmp_lg_u64 s[0:1], 0
	v_lshl_add_u64 v[16:17], v[16:17], 0, v[14:15]
	s_addc_u32 s47, s51, s47
	v_xor_b32_e32 v15, v16, v14
	v_xor_b32_e32 v3, v17, v14
	v_mad_u64_u32 v[16:17], s[0:1], v15, s47, 0
	v_mul_hi_u32 v18, v15, s50
	v_lshl_add_u64 v[16:17], v[18:19], 0, v[16:17]
	v_mad_u64_u32 v[20:21], s[0:1], v3, s50, 0
	v_add_co_u32_e32 v16, vcc, v16, v20
	v_mad_u64_u32 v[18:19], s[0:1], v3, s47, 0
	s_nop 0
	v_addc_co_u32_e32 v16, vcc, v17, v21, vcc
	v_mov_b32_e32 v17, v2
	s_nop 0
	v_addc_co_u32_e32 v19, vcc, 0, v19, vcc
	v_lshl_add_u64 v[16:17], v[16:17], 0, v[18:19]
	v_mul_lo_u32 v20, s49, v16
	v_mul_lo_u32 v21, s48, v17
	v_mad_u64_u32 v[18:19], s[0:1], s48, v16, 0
	v_add3_u32 v22, v19, v21, v20
	v_sub_u32_e32 v19, v3, v22
	v_mov_b32_e32 v20, s49
	v_sub_co_u32_e32 v15, vcc, v15, v18
	s_nop 1
	v_subb_co_u32_e64 v18, s[0:1], v19, v20, vcc
	v_subrev_co_u32_e64 v19, s[0:1], s48, v15
	v_subb_co_u32_e32 v3, vcc, v3, v22, vcc
	s_nop 0
	v_subbrev_co_u32_e64 v18, s[0:1], 0, v18, s[0:1]
	v_cmp_le_u32_e64 s[0:1], s49, v18
	v_cmp_le_u32_e32 vcc, s49, v3
	s_nop 0
	v_cndmask_b32_e64 v20, 0, -1, s[0:1]
	v_cmp_le_u32_e64 s[0:1], s48, v19
	s_nop 1
	v_cndmask_b32_e64 v19, 0, -1, s[0:1]
	v_cmp_eq_u32_e64 s[0:1], s49, v18
	s_nop 1
	v_cndmask_b32_e64 v23, v20, v19, s[0:1]
	v_lshl_add_u64 v[18:19], v[16:17], 0, 2
	v_lshl_add_u64 v[20:21], v[16:17], 0, 1
	v_cmp_ne_u32_e64 s[0:1], 0, v23
	s_nop 1
	v_cndmask_b32_e64 v19, v21, v19, s[0:1]
	v_cndmask_b32_e64 v21, 0, -1, vcc
	v_cmp_le_u32_e32 vcc, s48, v15
	s_nop 1
	v_cndmask_b32_e64 v15, 0, -1, vcc
	v_cmp_eq_u32_e32 vcc, s49, v3
	s_nop 1
	v_cndmask_b32_e32 v3, v21, v15, vcc
	v_cmp_ne_u32_e32 vcc, 0, v3
	v_cndmask_b32_e64 v15, v20, v18, s[0:1]
	s_nop 0
	v_cndmask_b32_e32 v15, v16, v15, vcc
	v_xor_b32_e32 v16, s46, v14
	v_cndmask_b32_e32 v3, v17, v19, vcc
	v_xor_b32_e32 v14, v15, v16
	v_xor_b32_e32 v3, v3, v16
	v_sub_co_u32_e32 v14, vcc, v14, v16
	s_nop 1
	v_subb_co_u32_e32 v15, vcc, v3, v16, vcc
                                        ; implicit-def: $vgpr16_vgpr17
.LBB11_18:                              ;   in Loop: Header=BB11_4 Depth=1
	s_andn2_saveexec_b64 s[0:1], s[2:3]
	s_cbranch_execz .LBB11_20
; %bb.19:                               ;   in Loop: Header=BB11_4 Depth=1
	v_cvt_f32_u32_e32 v3, s8
	s_sub_i32 s2, 0, s8
	v_rcp_iflag_f32_e32 v3, v3
	s_nop 0
	v_mul_f32_e32 v3, 0x4f7ffffe, v3
	v_cvt_u32_f32_e32 v3, v3
	v_mul_lo_u32 v14, s2, v3
	v_mul_hi_u32 v14, v3, v14
	v_add_u32_e32 v3, v3, v14
	v_mul_hi_u32 v3, v16, v3
	v_mul_lo_u32 v14, v3, s8
	v_sub_u32_e32 v14, v16, v14
	v_add_u32_e32 v15, 1, v3
	v_subrev_u32_e32 v16, s8, v14
	v_cmp_le_u32_e32 vcc, s8, v14
	s_nop 1
	v_cndmask_b32_e32 v14, v14, v16, vcc
	v_cndmask_b32_e32 v3, v3, v15, vcc
	v_add_u32_e32 v15, 1, v3
	v_cmp_le_u32_e32 vcc, s8, v14
	s_nop 1
	v_cndmask_b32_e32 v14, v3, v15, vcc
	v_mov_b32_e32 v15, v2
.LBB11_20:                              ;   in Loop: Header=BB11_4 Depth=1
	s_or_b64 exec, exec, s[0:1]
	v_mul_lo_u32 v3, v11, s54
	v_mul_lo_u32 v18, v10, s33
	v_mad_u64_u32 v[16:17], s[0:1], v10, s54, 0
	v_add3_u32 v3, v17, v18, v3
	v_sub_co_u32_e32 v18, vcc, v0, v16
	v_mul_lo_u32 v19, v15, s8
	s_nop 0
	v_subb_co_u32_e32 v3, vcc, v1, v3, vcc
	v_mul_lo_u32 v20, v14, s9
	v_mad_u64_u32 v[16:17], s[0:1], v14, s8, 0
	v_add3_u32 v17, v17, v20, v19
	v_sub_co_u32_e32 v28, vcc, v18, v16
	v_mul_lo_u32 v18, s65, v11
	s_nop 0
	v_subb_co_u32_e32 v29, vcc, v3, v17, vcc
	;; [unrolled: 7-line block ×3, first 2 shown]
	v_mul_lo_u32 v21, s8, v27
	v_mad_u64_u32 v[18:19], s[0:1], s8, v3, 0
	v_mad_u64_u32 v[16:17], s[0:1], s8, v3, v[0:1]
	v_add3_u32 v19, v19, v21, v20
	v_add3_u32 v17, v20, v17, v21
	v_cmp_lt_i64_e32 vcc, 0, v[14:15]
	v_cmp_ge_i64_e64 s[0:1], s[22:23], v[14:15]
	s_and_b64 s[50:51], vcc, s[0:1]
	v_cmp_eq_u64_e32 vcc, v[18:19], v[4:5]
	v_cmp_lt_i64_e64 s[0:1], s[20:21], v[16:17]
	s_or_b64 s[46:47], vcc, s[0:1]
	v_cmp_gt_i64_e32 vcc, s[28:29], v[16:17]
	v_cmp_le_i64_e64 s[0:1], s[36:37], v[16:17]
	s_and_b64 s[2:3], vcc, s[0:1]
	v_mov_b64_e32 v[16:17], 0
	v_lshl_add_u64 v[20:21], s[20:21], 0, v[0:1]
	s_and_saveexec_b64 s[48:49], s[50:51]
	s_cbranch_execz .LBB11_28
; %bb.21:                               ;   in Loop: Header=BB11_4 Depth=1
	v_mov_b32_e32 v16, s23
	v_sub_co_u32_e32 v24, vcc, s22, v14
	v_mul_lo_u32 v31, v24, s56
	s_nop 0
	v_subb_co_u32_e32 v16, vcc, v16, v15, vcc
	v_mul_lo_u32 v30, v16, s55
	v_mad_u64_u32 v[16:17], s[0:1], v24, s55, v[18:19]
	v_add3_u32 v17, v30, v17, v31
	v_lshl_add_u64 v[22:23], v[20:21], 0, v[16:17]
	v_cmp_gt_i64_e32 vcc, s[24:25], v[22:23]
	v_mov_b64_e32 v[16:17], 0
	s_and_saveexec_b64 s[0:1], vcc
	s_cbranch_execz .LBB11_23
; %bb.22:                               ;   in Loop: Header=BB11_4 Depth=1
	v_mul_lo_u32 v25, s59, v8
	v_mul_lo_u32 v32, s60, v9
	v_mad_u64_u32 v[16:17], s[50:51], s60, v8, 0
	v_add3_u32 v17, v17, v32, v25
	v_mul_lo_u32 v25, v13, s24
	v_mul_lo_u32 v34, v12, s25
	v_mad_u64_u32 v[32:33], s[50:51], v12, s24, 0
	v_add3_u32 v33, v33, v34, v25
	v_lshl_add_u64 v[16:17], v[16:17], 3, s[6:7]
	v_lshl_add_u64 v[16:17], v[32:33], 3, v[16:17]
	;; [unrolled: 1-line block ×3, first 2 shown]
	global_load_dwordx2 v[16:17], v[16:17], off
	s_waitcnt vmcnt(0)
	v_add_f64 v[16:17], v[16:17], 0
.LBB11_23:                              ;   in Loop: Header=BB11_4 Depth=1
	s_or_b64 exec, exec, s[0:1]
	v_mad_u64_u32 v[24:25], s[0:1], v24, s55, 0
	v_add3_u32 v25, v25, v31, v30
	s_mov_b64 s[52:53], 0
                                        ; implicit-def: $vgpr22_vgpr23
	s_and_saveexec_b64 s[0:1], s[46:47]
	s_xor_b64 s[50:51], exec, s[0:1]
	s_cbranch_execnz .LBB11_45
; %bb.24:                               ;   in Loop: Header=BB11_4 Depth=1
	s_andn2_saveexec_b64 s[50:51], s[50:51]
	s_cbranch_execnz .LBB11_48
.LBB11_25:                              ;   in Loop: Header=BB11_4 Depth=1
	s_or_b64 exec, exec, s[50:51]
	s_and_saveexec_b64 s[0:1], s[52:53]
	s_cbranch_execz .LBB11_27
.LBB11_26:                              ;   in Loop: Header=BB11_4 Depth=1
	v_mul_lo_u32 v30, s59, v8
	v_mul_lo_u32 v31, s60, v9
	v_mad_u64_u32 v[24:25], s[50:51], s60, v8, 0
	v_add3_u32 v25, v25, v31, v30
	v_mul_lo_u32 v32, v13, s24
	v_mul_lo_u32 v33, v12, s25
	v_mad_u64_u32 v[30:31], s[50:51], v12, s24, 0
	v_add3_u32 v31, v31, v33, v32
	v_lshl_add_u64 v[24:25], v[24:25], 3, s[6:7]
	v_lshl_add_u64 v[24:25], v[30:31], 3, v[24:25]
	;; [unrolled: 1-line block ×3, first 2 shown]
	global_load_dwordx2 v[22:23], v[22:23], off
	s_waitcnt vmcnt(0)
	v_add_f64 v[16:17], v[16:17], v[22:23]
.LBB11_27:                              ;   in Loop: Header=BB11_4 Depth=1
	s_or_b64 exec, exec, s[0:1]
.LBB11_28:                              ;   in Loop: Header=BB11_4 Depth=1
	s_or_b64 exec, exec, s[48:49]
	v_cmp_gt_i64_e32 vcc, s[30:31], v[14:15]
	v_cmp_le_i64_e64 s[0:1], s[34:35], v[14:15]
	s_and_b64 s[0:1], vcc, s[0:1]
	s_and_saveexec_b64 s[48:49], s[0:1]
	s_cbranch_execz .LBB11_36
; %bb.29:                               ;   in Loop: Header=BB11_4 Depth=1
	v_mov_b32_e32 v23, s64
	v_sub_co_u32_e32 v22, vcc, s63, v14
	v_mul_lo_u32 v24, s56, v22
	s_nop 0
	v_subb_co_u32_e32 v23, vcc, v23, v15, vcc
	v_mul_lo_u32 v25, s55, v23
	v_mad_u64_u32 v[30:31], s[0:1], s55, v22, v[18:19]
	v_add3_u32 v31, v24, v31, v25
	v_lshl_add_u64 v[20:21], v[20:21], 0, v[30:31]
	v_cmp_lt_i64_e32 vcc, -1, v[20:21]
	v_cmp_gt_i64_e64 s[0:1], s[24:25], v[20:21]
	s_and_b64 s[50:51], vcc, s[0:1]
	s_and_saveexec_b64 s[0:1], s[50:51]
	s_cbranch_execz .LBB11_31
; %bb.30:                               ;   in Loop: Header=BB11_4 Depth=1
	v_mul_lo_u32 v23, s59, v8
	v_mul_lo_u32 v32, s60, v9
	v_mad_u64_u32 v[30:31], s[50:51], s60, v8, 0
	v_add3_u32 v31, v31, v32, v23
	v_mul_lo_u32 v23, v13, s24
	v_mul_lo_u32 v34, v12, s25
	v_mad_u64_u32 v[32:33], s[50:51], v12, s24, 0
	v_add3_u32 v33, v33, v34, v23
	v_lshl_add_u64 v[30:31], v[30:31], 3, s[6:7]
	v_lshl_add_u64 v[30:31], v[32:33], 3, v[30:31]
	;; [unrolled: 1-line block ×3, first 2 shown]
	global_load_dwordx2 v[20:21], v[20:21], off
	s_waitcnt vmcnt(0)
	v_add_f64 v[16:17], v[16:17], v[20:21]
.LBB11_31:                              ;   in Loop: Header=BB11_4 Depth=1
	s_or_b64 exec, exec, s[0:1]
	v_mad_u64_u32 v[22:23], s[0:1], s55, v22, 0
	v_add3_u32 v23, v23, v25, v24
	s_mov_b64 s[52:53], 0
                                        ; implicit-def: $vgpr20_vgpr21
	s_and_saveexec_b64 s[0:1], s[46:47]
	s_xor_b64 s[50:51], exec, s[0:1]
	s_cbranch_execnz .LBB11_49
; %bb.32:                               ;   in Loop: Header=BB11_4 Depth=1
	s_andn2_saveexec_b64 s[50:51], s[50:51]
	s_cbranch_execnz .LBB11_52
.LBB11_33:                              ;   in Loop: Header=BB11_4 Depth=1
	s_or_b64 exec, exec, s[50:51]
	s_and_saveexec_b64 s[0:1], s[52:53]
	s_cbranch_execz .LBB11_35
.LBB11_34:                              ;   in Loop: Header=BB11_4 Depth=1
	v_mul_lo_u32 v24, s59, v8
	v_mul_lo_u32 v25, s60, v9
	v_mad_u64_u32 v[22:23], s[50:51], s60, v8, 0
	v_add3_u32 v23, v23, v25, v24
	v_mul_lo_u32 v28, v13, s24
	v_mul_lo_u32 v29, v12, s25
	v_mad_u64_u32 v[24:25], s[50:51], v12, s24, 0
	v_add3_u32 v25, v25, v29, v28
	v_lshl_add_u64 v[22:23], v[22:23], 3, s[6:7]
	v_lshl_add_u64 v[22:23], v[24:25], 3, v[22:23]
	;; [unrolled: 1-line block ×3, first 2 shown]
	global_load_dwordx2 v[20:21], v[20:21], off
	s_waitcnt vmcnt(0)
	v_add_f64 v[16:17], v[16:17], v[20:21]
.LBB11_35:                              ;   in Loop: Header=BB11_4 Depth=1
	s_or_b64 exec, exec, s[0:1]
.LBB11_36:                              ;   in Loop: Header=BB11_4 Depth=1
	s_or_b64 exec, exec, s[48:49]
	v_lshl_add_u64 v[24:25], v[14:15], 0, s[22:23]
	v_mul_lo_u32 v28, v25, s55
	v_mul_lo_u32 v25, v24, s56
                                        ; implicit-def: $vgpr20_vgpr21
	s_and_saveexec_b64 s[0:1], s[46:47]
	s_xor_b64 s[0:1], exec, s[0:1]
	s_cbranch_execnz .LBB11_39
; %bb.37:                               ;   in Loop: Header=BB11_4 Depth=1
	s_or_saveexec_b64 s[46:47], s[0:1]
	v_lshl_add_u64 v[22:23], s[20:21], 0, v[4:5]
	s_xor_b64 exec, exec, s[46:47]
	s_cbranch_execnz .LBB11_40
.LBB11_38:                              ;   in Loop: Header=BB11_4 Depth=1
	s_or_b64 exec, exec, s[46:47]
	s_and_saveexec_b64 s[46:47], s[2:3]
	s_cbranch_execz .LBB11_3
	s_branch .LBB11_43
.LBB11_39:                              ;   in Loop: Header=BB11_4 Depth=1
	v_mad_u64_u32 v[20:21], s[46:47], v24, s55, 0
	v_add3_u32 v21, v21, v25, v28
                                        ; implicit-def: $vgpr24_vgpr25
                                        ; implicit-def: $vgpr25
                                        ; implicit-def: $vgpr28
                                        ; implicit-def: $vgpr18_vgpr19
	s_or_saveexec_b64 s[46:47], s[0:1]
	v_lshl_add_u64 v[22:23], s[20:21], 0, v[4:5]
	s_xor_b64 exec, exec, s[46:47]
	s_cbranch_execz .LBB11_38
.LBB11_40:                              ;   in Loop: Header=BB11_4 Depth=1
	v_mad_u64_u32 v[20:21], s[0:1], v24, s55, 0
	v_add3_u32 v21, v21, v25, v28
	v_sub_co_u32_e32 v18, vcc, v20, v18
	s_nop 1
	v_subb_co_u32_e32 v19, vcc, v21, v19, vcc
	v_lshl_add_u64 v[18:19], v[22:23], 0, v[18:19]
	v_cmp_lt_i64_e32 vcc, -1, v[18:19]
	v_cmp_gt_i64_e64 s[0:1], s[24:25], v[18:19]
	s_and_b64 s[48:49], vcc, s[0:1]
	s_and_saveexec_b64 s[0:1], s[48:49]
	s_cbranch_execz .LBB11_42
; %bb.41:                               ;   in Loop: Header=BB11_4 Depth=1
	v_mul_lo_u32 v28, s59, v8
	v_mul_lo_u32 v29, s60, v9
	v_mad_u64_u32 v[24:25], s[48:49], s60, v8, 0
	v_add3_u32 v25, v25, v29, v28
	v_mul_lo_u32 v30, v13, s24
	v_mul_lo_u32 v31, v12, s25
	v_mad_u64_u32 v[28:29], s[48:49], v12, s24, 0
	v_add3_u32 v29, v29, v31, v30
	v_lshl_add_u64 v[24:25], v[24:25], 3, s[6:7]
	v_lshl_add_u64 v[24:25], v[28:29], 3, v[24:25]
	;; [unrolled: 1-line block ×3, first 2 shown]
	global_load_dwordx2 v[18:19], v[18:19], off
	s_waitcnt vmcnt(0)
	v_add_f64 v[16:17], v[16:17], v[18:19]
.LBB11_42:                              ;   in Loop: Header=BB11_4 Depth=1
	s_or_b64 exec, exec, s[0:1]
	s_or_b64 exec, exec, s[46:47]
	s_and_saveexec_b64 s[46:47], s[2:3]
	s_cbranch_execz .LBB11_3
.LBB11_43:                              ;   in Loop: Header=BB11_4 Depth=1
	v_mad_u64_u32 v[14:15], s[0:1], s10, v10, v[14:15]
	v_mul_lo_u32 v11, s10, v11
	v_mul_lo_u32 v10, s11, v10
	v_add3_u32 v15, v10, v15, v11
	v_lshl_add_u64 v[10:11], v[14:15], 0, 2
	v_mul_lo_u32 v14, s8, v11
	v_mul_lo_u32 v15, s9, v10
	v_mad_u64_u32 v[10:11], s[0:1], s8, v10, v[20:21]
	v_add3_u32 v11, v15, v11, v14
	v_lshl_add_u64 v[10:11], v[22:23], 0, v[10:11]
	v_lshl_add_u64 v[10:11], v[10:11], 0, -2
	v_cmp_lt_i64_e32 vcc, -1, v[10:11]
	v_cmp_gt_i64_e64 s[0:1], s[24:25], v[10:11]
	s_and_b64 s[2:3], vcc, s[0:1]
	s_and_saveexec_b64 s[0:1], s[2:3]
	s_cbranch_execz .LBB11_2
; %bb.44:                               ;   in Loop: Header=BB11_4 Depth=1
	v_mul_lo_u32 v18, s59, v8
	v_mul_lo_u32 v19, s60, v9
	v_mad_u64_u32 v[14:15], s[2:3], s60, v8, 0
	v_add3_u32 v15, v15, v19, v18
	v_mul_lo_u32 v22, v13, s24
	v_mul_lo_u32 v23, v12, s25
	v_mad_u64_u32 v[18:19], s[2:3], v12, s24, 0
	v_add3_u32 v19, v19, v23, v22
	v_lshl_add_u64 v[14:15], v[14:15], 3, s[6:7]
	v_lshl_add_u64 v[14:15], v[18:19], 3, v[14:15]
	;; [unrolled: 1-line block ×3, first 2 shown]
	global_load_dwordx2 v[10:11], v[10:11], off
	s_waitcnt vmcnt(0)
	v_add_f64 v[16:17], v[16:17], v[10:11]
	s_branch .LBB11_2
.LBB11_45:                              ;   in Loop: Header=BB11_4 Depth=1
	s_mov_b64 s[0:1], 0
                                        ; implicit-def: $vgpr22_vgpr23
	s_and_saveexec_b64 s[52:53], s[2:3]
	s_xor_b64 s[52:53], exec, s[52:53]
	s_cbranch_execz .LBB11_47
; %bb.46:                               ;   in Loop: Header=BB11_4 Depth=1
	v_mad_u64_u32 v[30:31], s[0:1], s10, v10, v[14:15]
	v_mul_lo_u32 v32, s10, v11
	v_mul_lo_u32 v33, s11, v10
	v_mov_b32_e32 v23, s62
	v_sub_co_u32_e32 v22, vcc, s61, v28
	v_add3_u32 v31, v33, v31, v32
	s_nop 0
	v_subb_co_u32_e32 v23, vcc, v23, v29, vcc
	v_lshl_add_u64 v[30:31], v[30:31], 0, 2
	v_lshl_add_u64 v[22:23], v[22:23], 0, v[24:25]
	v_mul_lo_u32 v31, s8, v31
	v_mul_lo_u32 v32, s9, v30
	v_mad_u64_u32 v[24:25], s[0:1], s8, v30, v[24:25]
	v_add3_u32 v25, v32, v25, v31
	v_lshl_add_u64 v[30:31], s[20:21], 0, v[4:5]
	v_lshl_add_u64 v[24:25], v[30:31], 0, v[24:25]
	v_lshl_add_u64 v[24:25], v[24:25], 0, -2
	v_cmp_lt_i64_e32 vcc, -1, v[24:25]
	v_cmp_gt_i64_e64 s[0:1], s[24:25], v[24:25]
	s_and_b64 s[0:1], vcc, s[0:1]
	s_and_b64 s[0:1], s[0:1], exec
.LBB11_47:                              ;   in Loop: Header=BB11_4 Depth=1
	s_or_b64 exec, exec, s[52:53]
	s_and_b64 s[52:53], s[0:1], exec
                                        ; implicit-def: $vgpr24_vgpr25
	s_andn2_saveexec_b64 s[50:51], s[50:51]
	s_cbranch_execz .LBB11_25
.LBB11_48:                              ;   in Loop: Header=BB11_4 Depth=1
	v_sub_co_u32_e32 v22, vcc, v24, v18
	s_andn2_b64 s[52:53], s[52:53], exec
	s_nop 0
	v_subb_co_u32_e32 v23, vcc, v25, v19, vcc
	v_lshl_add_u64 v[24:25], s[20:21], 0, v[4:5]
	v_lshl_add_u64 v[22:23], v[24:25], 0, v[22:23]
	v_cmp_lt_i64_e32 vcc, -1, v[22:23]
	v_cmp_gt_i64_e64 s[0:1], s[24:25], v[22:23]
	s_and_b64 s[0:1], vcc, s[0:1]
	s_and_b64 s[0:1], s[0:1], exec
	s_or_b64 s[52:53], s[52:53], s[0:1]
	s_or_b64 exec, exec, s[50:51]
	s_and_saveexec_b64 s[0:1], s[52:53]
	s_cbranch_execnz .LBB11_26
	s_branch .LBB11_27
.LBB11_49:                              ;   in Loop: Header=BB11_4 Depth=1
	s_mov_b64 s[0:1], 0
                                        ; implicit-def: $vgpr20_vgpr21
	s_and_saveexec_b64 s[52:53], s[2:3]
	s_xor_b64 s[52:53], exec, s[52:53]
	s_cbranch_execz .LBB11_51
; %bb.50:                               ;   in Loop: Header=BB11_4 Depth=1
	v_lshl_add_u64 v[20:21], s[12:13], 0, v[22:23]
	v_sub_co_u32_e32 v20, vcc, v20, v28
	v_mad_u64_u32 v[24:25], s[0:1], s10, v10, v[14:15]
	s_nop 0
	v_subb_co_u32_e32 v21, vcc, v21, v29, vcc
	v_mul_lo_u32 v28, s10, v11
	v_mul_lo_u32 v29, s11, v10
	v_add3_u32 v25, v29, v25, v28
	v_lshl_add_u64 v[24:25], v[24:25], 0, 2
	v_mul_lo_u32 v25, s8, v25
	v_mul_lo_u32 v28, s9, v24
	v_mad_u64_u32 v[22:23], s[0:1], s8, v24, v[22:23]
	v_add3_u32 v23, v28, v23, v25
	v_lshl_add_u64 v[24:25], s[20:21], 0, v[4:5]
	v_lshl_add_u64 v[22:23], v[24:25], 0, v[22:23]
	v_lshl_add_u64 v[22:23], v[22:23], 0, -2
	v_cmp_lt_i64_e32 vcc, -1, v[22:23]
	v_cmp_gt_i64_e64 s[0:1], s[24:25], v[22:23]
	s_and_b64 s[0:1], vcc, s[0:1]
	s_and_b64 s[0:1], s[0:1], exec
.LBB11_51:                              ;   in Loop: Header=BB11_4 Depth=1
	s_or_b64 exec, exec, s[52:53]
	s_and_b64 s[52:53], s[0:1], exec
                                        ; implicit-def: $vgpr22_vgpr23
	s_andn2_saveexec_b64 s[50:51], s[50:51]
	s_cbranch_execz .LBB11_33
.LBB11_52:                              ;   in Loop: Header=BB11_4 Depth=1
	v_sub_co_u32_e32 v20, vcc, v22, v18
	s_andn2_b64 s[52:53], s[52:53], exec
	s_nop 0
	v_subb_co_u32_e32 v21, vcc, v23, v19, vcc
	v_lshl_add_u64 v[22:23], s[20:21], 0, v[4:5]
	v_lshl_add_u64 v[20:21], v[22:23], 0, v[20:21]
	v_cmp_lt_i64_e32 vcc, -1, v[20:21]
	v_cmp_gt_i64_e64 s[0:1], s[24:25], v[20:21]
	s_and_b64 s[0:1], vcc, s[0:1]
	s_and_b64 s[0:1], s[0:1], exec
	s_or_b64 s[52:53], s[52:53], s[0:1]
	s_or_b64 exec, exec, s[50:51]
	s_and_saveexec_b64 s[0:1], s[52:53]
	s_cbranch_execnz .LBB11_34
	s_branch .LBB11_35
.LBB11_53:
	s_endpgm
	.section	.rodata,"a",@progbits
	.p2align	6, 0x0
	.amdhsa_kernel _ZN2at6native12_GLOBAL__N_140reflection_pad2d_backward_det_out_kernelIdEEvPT_PKS3_lliiiiiii
		.amdhsa_group_segment_fixed_size 0
		.amdhsa_private_segment_fixed_size 0
		.amdhsa_kernarg_size 320
		.amdhsa_user_sgpr_count 2
		.amdhsa_user_sgpr_dispatch_ptr 0
		.amdhsa_user_sgpr_queue_ptr 0
		.amdhsa_user_sgpr_kernarg_segment_ptr 1
		.amdhsa_user_sgpr_dispatch_id 0
		.amdhsa_user_sgpr_kernarg_preload_length 0
		.amdhsa_user_sgpr_kernarg_preload_offset 0
		.amdhsa_user_sgpr_private_segment_size 0
		.amdhsa_uses_dynamic_stack 0
		.amdhsa_enable_private_segment 0
		.amdhsa_system_sgpr_workgroup_id_x 1
		.amdhsa_system_sgpr_workgroup_id_y 0
		.amdhsa_system_sgpr_workgroup_id_z 0
		.amdhsa_system_sgpr_workgroup_info 0
		.amdhsa_system_vgpr_workitem_id 0
		.amdhsa_next_free_vgpr 35
		.amdhsa_next_free_sgpr 72
		.amdhsa_accum_offset 36
		.amdhsa_reserve_vcc 1
		.amdhsa_float_round_mode_32 0
		.amdhsa_float_round_mode_16_64 0
		.amdhsa_float_denorm_mode_32 3
		.amdhsa_float_denorm_mode_16_64 3
		.amdhsa_dx10_clamp 1
		.amdhsa_ieee_mode 1
		.amdhsa_fp16_overflow 0
		.amdhsa_tg_split 0
		.amdhsa_exception_fp_ieee_invalid_op 0
		.amdhsa_exception_fp_denorm_src 0
		.amdhsa_exception_fp_ieee_div_zero 0
		.amdhsa_exception_fp_ieee_overflow 0
		.amdhsa_exception_fp_ieee_underflow 0
		.amdhsa_exception_fp_ieee_inexact 0
		.amdhsa_exception_int_div_zero 0
	.end_amdhsa_kernel
	.section	.text._ZN2at6native12_GLOBAL__N_140reflection_pad2d_backward_det_out_kernelIdEEvPT_PKS3_lliiiiiii,"axG",@progbits,_ZN2at6native12_GLOBAL__N_140reflection_pad2d_backward_det_out_kernelIdEEvPT_PKS3_lliiiiiii,comdat
.Lfunc_end11:
	.size	_ZN2at6native12_GLOBAL__N_140reflection_pad2d_backward_det_out_kernelIdEEvPT_PKS3_lliiiiiii, .Lfunc_end11-_ZN2at6native12_GLOBAL__N_140reflection_pad2d_backward_det_out_kernelIdEEvPT_PKS3_lliiiiiii
                                        ; -- End function
	.set _ZN2at6native12_GLOBAL__N_140reflection_pad2d_backward_det_out_kernelIdEEvPT_PKS3_lliiiiiii.num_vgpr, 35
	.set _ZN2at6native12_GLOBAL__N_140reflection_pad2d_backward_det_out_kernelIdEEvPT_PKS3_lliiiiiii.num_agpr, 0
	.set _ZN2at6native12_GLOBAL__N_140reflection_pad2d_backward_det_out_kernelIdEEvPT_PKS3_lliiiiiii.numbered_sgpr, 72
	.set _ZN2at6native12_GLOBAL__N_140reflection_pad2d_backward_det_out_kernelIdEEvPT_PKS3_lliiiiiii.num_named_barrier, 0
	.set _ZN2at6native12_GLOBAL__N_140reflection_pad2d_backward_det_out_kernelIdEEvPT_PKS3_lliiiiiii.private_seg_size, 0
	.set _ZN2at6native12_GLOBAL__N_140reflection_pad2d_backward_det_out_kernelIdEEvPT_PKS3_lliiiiiii.uses_vcc, 1
	.set _ZN2at6native12_GLOBAL__N_140reflection_pad2d_backward_det_out_kernelIdEEvPT_PKS3_lliiiiiii.uses_flat_scratch, 0
	.set _ZN2at6native12_GLOBAL__N_140reflection_pad2d_backward_det_out_kernelIdEEvPT_PKS3_lliiiiiii.has_dyn_sized_stack, 0
	.set _ZN2at6native12_GLOBAL__N_140reflection_pad2d_backward_det_out_kernelIdEEvPT_PKS3_lliiiiiii.has_recursion, 0
	.set _ZN2at6native12_GLOBAL__N_140reflection_pad2d_backward_det_out_kernelIdEEvPT_PKS3_lliiiiiii.has_indirect_call, 0
	.section	.AMDGPU.csdata,"",@progbits
; Kernel info:
; codeLenInByte = 5888
; TotalNumSgprs: 78
; NumVgprs: 35
; NumAgprs: 0
; TotalNumVgprs: 35
; ScratchSize: 0
; MemoryBound: 0
; FloatMode: 240
; IeeeMode: 1
; LDSByteSize: 0 bytes/workgroup (compile time only)
; SGPRBlocks: 9
; VGPRBlocks: 4
; NumSGPRsForWavesPerEU: 78
; NumVGPRsForWavesPerEU: 35
; AccumOffset: 36
; Occupancy: 8
; WaveLimiterHint : 0
; COMPUTE_PGM_RSRC2:SCRATCH_EN: 0
; COMPUTE_PGM_RSRC2:USER_SGPR: 2
; COMPUTE_PGM_RSRC2:TRAP_HANDLER: 0
; COMPUTE_PGM_RSRC2:TGID_X_EN: 1
; COMPUTE_PGM_RSRC2:TGID_Y_EN: 0
; COMPUTE_PGM_RSRC2:TGID_Z_EN: 0
; COMPUTE_PGM_RSRC2:TIDIG_COMP_CNT: 0
; COMPUTE_PGM_RSRC3_GFX90A:ACCUM_OFFSET: 8
; COMPUTE_PGM_RSRC3_GFX90A:TG_SPLIT: 0
	.section	.text._ZN2at6native12_GLOBAL__N_136reflection_pad2d_backward_out_kernelIdEEvPT_PKS3_lliiiiiii,"axG",@progbits,_ZN2at6native12_GLOBAL__N_136reflection_pad2d_backward_out_kernelIdEEvPT_PKS3_lliiiiiii,comdat
	.globl	_ZN2at6native12_GLOBAL__N_136reflection_pad2d_backward_out_kernelIdEEvPT_PKS3_lliiiiiii ; -- Begin function _ZN2at6native12_GLOBAL__N_136reflection_pad2d_backward_out_kernelIdEEvPT_PKS3_lliiiiiii
	.p2align	8
	.type	_ZN2at6native12_GLOBAL__N_136reflection_pad2d_backward_out_kernelIdEEvPT_PKS3_lliiiiiii,@function
_ZN2at6native12_GLOBAL__N_136reflection_pad2d_backward_out_kernelIdEEvPT_PKS3_lliiiiiii: ; @_ZN2at6native12_GLOBAL__N_136reflection_pad2d_backward_out_kernelIdEEvPT_PKS3_lliiiiiii
; %bb.0:
	s_load_dword s5, s[0:1], 0x4c
	s_load_dwordx4 s[16:19], s[0:1], 0x20
	s_load_dwordx8 s[8:15], s[0:1], 0x0
	v_mov_b32_e32 v1, 0
	s_waitcnt lgkmcnt(0)
	s_and_b32 s5, s5, 0xffff
	s_ashr_i32 s7, s18, 31
	s_mul_i32 s2, s2, s5
	s_add_u32 s5, s12, s18
	v_add_u32_e32 v0, s2, v0
	s_addc_u32 s30, s13, s7
	s_ashr_i32 s2, s19, 31
	s_add_u32 s34, s5, s19
	s_addc_u32 s23, s30, s2
	s_ashr_i32 s21, s16, 31
	s_add_u32 s31, s14, s16
	;; [unrolled: 3-line block ×3, first 2 shown]
	s_addc_u32 s36, s33, s2
	s_mov_b32 s20, s16
	s_mul_i32 s2, s34, s36
	s_mul_hi_u32 s16, s34, s35
	s_add_i32 s2, s16, s2
	s_mul_i32 s16, s23, s35
	s_add_i32 s17, s2, s16
	s_mul_i32 s16, s34, s35
	v_cmp_gt_i64_e32 vcc, s[16:17], v[0:1]
	s_and_saveexec_b64 s[16:17], vcc
	s_cbranch_execz .LBB12_5
; %bb.1:
	s_mov_b32 s6, s18
	s_load_dwordx4 s[16:19], s[0:1], 0x30
	s_mov_b32 s22, 0
	s_cmp_lg_u64 s[22:23], 0
	s_cbranch_scc0 .LBB12_6
; %bb.2:
	s_ashr_i32 s24, s23, 31
	s_add_u32 s0, s34, s24
	s_mov_b32 s25, s24
	s_addc_u32 s1, s23, s24
	s_xor_b64 s[28:29], s[0:1], s[24:25]
	v_cvt_f32_u32_e32 v2, s28
	v_cvt_f32_u32_e32 v3, s29
	s_sub_u32 s2, 0, s28
	s_waitcnt lgkmcnt(0)
	s_subb_u32 s19, 0, s29
	v_lshl_add_u64 v[4:5], v[0:1], 0, 0
	v_fmamk_f32 v2, v3, 0x4f800000, v2
	v_rcp_f32_e32 v2, v2
	s_nop 0
	v_mul_f32_e32 v2, 0x5f7ffffc, v2
	v_mul_f32_e32 v3, 0x2f800000, v2
	v_trunc_f32_e32 v3, v3
	v_fmamk_f32 v2, v3, 0xcf800000, v2
	v_cvt_u32_f32_e32 v3, v3
	v_cvt_u32_f32_e32 v2, v2
	v_readfirstlane_b32 s22, v3
	v_readfirstlane_b32 s0, v2
	s_mul_i32 s1, s2, s22
	s_mul_hi_u32 s37, s2, s0
	s_mul_i32 s25, s19, s0
	s_add_i32 s1, s37, s1
	s_add_i32 s1, s1, s25
	s_mul_i32 s38, s2, s0
	s_mul_i32 s37, s0, s1
	s_mul_hi_u32 s39, s0, s38
	s_mul_hi_u32 s25, s0, s1
	s_add_u32 s37, s39, s37
	s_addc_u32 s25, 0, s25
	s_mul_hi_u32 s40, s22, s38
	s_mul_i32 s38, s22, s38
	s_add_u32 s37, s37, s38
	s_mul_hi_u32 s39, s22, s1
	s_addc_u32 s25, s25, s40
	s_addc_u32 s37, s39, 0
	s_mul_i32 s1, s22, s1
	s_add_u32 s1, s25, s1
	s_addc_u32 s25, 0, s37
	s_add_u32 s37, s0, s1
	s_cselect_b64 s[0:1], -1, 0
	s_cmp_lg_u64 s[0:1], 0
	s_addc_u32 s22, s22, s25
	s_mul_i32 s0, s2, s22
	s_mul_hi_u32 s1, s2, s37
	s_add_i32 s0, s1, s0
	s_mul_i32 s19, s19, s37
	s_add_i32 s0, s0, s19
	s_mul_i32 s2, s2, s37
	s_mul_hi_u32 s19, s22, s2
	s_mul_i32 s25, s22, s2
	s_mul_i32 s39, s37, s0
	s_mul_hi_u32 s2, s37, s2
	s_mul_hi_u32 s38, s37, s0
	s_add_u32 s2, s2, s39
	s_addc_u32 s38, 0, s38
	s_add_u32 s2, s2, s25
	s_mul_hi_u32 s1, s22, s0
	s_addc_u32 s2, s38, s19
	s_addc_u32 s1, s1, 0
	s_mul_i32 s0, s22, s0
	s_add_u32 s0, s2, s0
	s_addc_u32 s2, 0, s1
	s_add_u32 s19, s37, s0
	s_cselect_b64 s[0:1], -1, 0
	s_cmp_lg_u64 s[0:1], 0
	s_addc_u32 s2, s22, s2
	v_mov_b32_e32 v3, 0
	v_mad_u64_u32 v[6:7], s[0:1], v4, s2, 0
	v_mul_hi_u32 v2, v4, s19
	v_lshl_add_u64 v[6:7], v[2:3], 0, v[6:7]
	v_mad_u64_u32 v[10:11], s[0:1], v5, s19, 0
	v_add_co_u32_e32 v1, vcc, v6, v10
	v_mad_u64_u32 v[8:9], s[0:1], v5, s2, 0
	s_nop 0
	v_addc_co_u32_e32 v2, vcc, v7, v11, vcc
	s_nop 1
	v_addc_co_u32_e32 v9, vcc, 0, v9, vcc
	v_lshl_add_u64 v[2:3], v[2:3], 0, v[8:9]
	v_mul_lo_u32 v1, s29, v2
	v_mul_lo_u32 v8, s28, v3
	v_mad_u64_u32 v[6:7], s[0:1], s28, v2, 0
	v_add3_u32 v1, v7, v8, v1
	v_sub_u32_e32 v7, v5, v1
	v_mov_b32_e32 v8, s29
	v_sub_co_u32_e32 v4, vcc, v4, v6
	s_nop 1
	v_subb_co_u32_e64 v6, s[0:1], v7, v8, vcc
	v_subrev_co_u32_e64 v7, s[0:1], s28, v4
	v_subb_co_u32_e32 v1, vcc, v5, v1, vcc
	s_nop 0
	v_subbrev_co_u32_e64 v6, s[0:1], 0, v6, s[0:1]
	v_cmp_le_u32_e64 s[0:1], s29, v6
	v_cmp_le_u32_e32 vcc, s29, v1
	s_nop 0
	v_cndmask_b32_e64 v8, 0, -1, s[0:1]
	v_cmp_le_u32_e64 s[0:1], s28, v7
	v_cndmask_b32_e64 v5, 0, -1, vcc
	v_cmp_le_u32_e32 vcc, s28, v4
	v_cndmask_b32_e64 v7, 0, -1, s[0:1]
	v_cmp_eq_u32_e64 s[0:1], s29, v6
	v_cndmask_b32_e64 v4, 0, -1, vcc
	v_cmp_eq_u32_e32 vcc, s29, v1
	v_cndmask_b32_e64 v10, v8, v7, s[0:1]
	v_lshl_add_u64 v[6:7], v[2:3], 0, 2
	v_lshl_add_u64 v[8:9], v[2:3], 0, 1
	v_cmp_ne_u32_e64 s[0:1], 0, v10
	v_cndmask_b32_e32 v1, v5, v4, vcc
	v_cmp_ne_u32_e32 vcc, 0, v1
	v_cndmask_b32_e64 v7, v9, v7, s[0:1]
	s_nop 0
	v_cndmask_b32_e32 v1, v3, v7, vcc
	v_cndmask_b32_e64 v3, v8, v6, s[0:1]
	v_cndmask_b32_e32 v2, v2, v3, vcc
	v_xor_b32_e32 v2, s24, v2
	v_xor_b32_e32 v1, s24, v1
	v_mov_b32_e32 v3, s24
	v_subrev_co_u32_e32 v2, vcc, s24, v2
	s_nop 1
	v_subb_co_u32_e32 v3, vcc, v1, v3, vcc
	s_cbranch_execnz .LBB12_4
.LBB12_3:
	v_cvt_f32_u32_e32 v1, s34
	s_sub_i32 s0, 0, s34
	v_rcp_iflag_f32_e32 v1, v1
	s_nop 0
	v_mul_f32_e32 v1, 0x4f7ffffe, v1
	v_cvt_u32_f32_e32 v1, v1
	v_mul_lo_u32 v2, s0, v1
	v_mul_hi_u32 v2, v1, v2
	v_add_u32_e32 v1, v1, v2
	v_mul_hi_u32 v1, v0, v1
	v_mul_lo_u32 v2, v1, s34
	v_sub_u32_e32 v2, v0, v2
	v_add_u32_e32 v3, 1, v1
	v_subrev_u32_e32 v4, s34, v2
	v_cmp_le_u32_e32 vcc, s34, v2
	s_nop 1
	v_cndmask_b32_e32 v2, v2, v4, vcc
	v_cndmask_b32_e32 v1, v1, v3, vcc
	v_add_u32_e32 v3, 1, v1
	v_cmp_le_u32_e32 vcc, s34, v2
	s_nop 1
	v_cndmask_b32_e32 v2, v1, v3, vcc
	v_mov_b32_e32 v3, 0
.LBB12_4:
	s_sub_u32 s0, 0, s20
	s_subb_u32 s1, 0, s21
	s_sub_u32 s24, 0, s6
	s_subb_u32 s25, 0, s7
	s_waitcnt lgkmcnt(0)
	s_add_i32 s2, s16, s3
	s_add_i32 s3, s17, s4
	s_mul_i32 s3, s3, s18
	s_add_i32 s4, s2, s3
	s_mul_i32 s2, s15, s4
	s_mul_hi_u32 s3, s14, s4
	s_add_i32 s15, s3, s2
	v_mul_lo_u32 v1, v3, s34
	v_mul_lo_u32 v10, v2, s23
	v_mad_u64_u32 v[8:9], s[2:3], v2, s34, 0
	v_add3_u32 v1, v9, v10, v1
	v_sub_co_u32_e32 v0, vcc, v0, v8
	v_mov_b32_e32 v8, s7
	s_nop 0
	v_subb_co_u32_e32 v1, vcc, 0, v1, vcc
	v_subrev_co_u32_e32 v9, vcc, s6, v0
	v_mov_b32_e32 v4, s8
	s_nop 0
	v_subb_co_u32_e32 v8, vcc, v1, v8, vcc
	v_ashrrev_i32_e32 v10, 31, v8
	v_xor_b32_e32 v11, v8, v10
	v_mov_b32_e32 v8, s4
	v_mov_b32_e32 v5, s9
	v_xor_b32_e32 v12, v9, v10
	s_mul_i32 s36, s36, s4
	v_mad_u64_u32 v[8:9], s[8:9], s35, v8, v[2:3]
	v_add_u32_e32 v9, s36, v9
	v_mul_lo_u32 v13, v9, s34
	v_mul_lo_u32 v14, v8, s23
	v_mad_u64_u32 v[8:9], s[8:9], v8, s34, 0
	v_mov_b32_e32 v6, s10
	v_mov_b32_e32 v7, s11
	v_add3_u32 v9, v9, v14, v13
	v_lshl_add_u64 v[6:7], v[8:9], 3, v[6:7]
	v_lshl_add_u64 v[6:7], v[0:1], 3, v[6:7]
	global_load_dwordx2 v[6:7], v[6:7], off
	v_sub_co_u32_e32 v8, vcc, v12, v10
	v_cmp_gt_i64_e64 s[2:3], s[24:25], 0
	s_nop 0
	v_subb_co_u32_e32 v9, vcc, v11, v10, vcc
	v_mov_b32_e32 v11, s30
	v_subrev_co_u32_e32 v10, vcc, s5, v0
	s_and_b64 s[2:3], s[2:3], exec
	s_nop 0
	v_subb_co_u32_e32 v11, vcc, v1, v11, vcc
	v_lshl_add_u64 v[10:11], v[10:11], 0, 1
	v_ashrrev_i32_e32 v12, 31, v11
	v_xor_b32_e32 v10, v10, v12
	v_xor_b32_e32 v11, v11, v12
	v_sub_co_u32_e32 v10, vcc, v10, v12
	v_cmp_gt_i64_e64 s[2:3], s[0:1], 0
	s_nop 0
	v_subb_co_u32_e32 v11, vcc, v11, v12, vcc
	s_cselect_b32 s10, s25, 0
	s_cselect_b32 s11, s24, 0
	s_and_b64 s[2:3], s[2:3], exec
	v_mov_b32_e32 v12, s21
	v_subrev_co_u32_e32 v13, vcc, s20, v2
	s_cselect_b32 s16, s1, 0
	s_cselect_b32 s17, s0, 0
	v_cmp_gt_i64_e64 s[0:1], s[6:7], 0
	v_subb_co_u32_e32 v12, vcc, v3, v12, vcc
	s_and_b64 s[0:1], s[0:1], exec
	v_cmp_gt_i64_e64 s[2:3], s[20:21], 0
	v_ashrrev_i32_e32 v14, 31, v12
	s_cselect_b32 s1, s7, 0
	s_cselect_b32 s0, s6, 0
	s_and_b64 s[2:3], s[2:3], exec
	v_xor_b32_e32 v15, v12, v14
	v_xor_b32_e32 v12, v13, v14
	s_cselect_b32 s3, s21, 0
	s_cselect_b32 s2, s20, 0
	v_sub_co_u32_e32 v12, vcc, v12, v14
	s_not_b64 s[2:3], s[2:3]
	s_nop 0
	v_subb_co_u32_e32 v13, vcc, v15, v14, vcc
	s_mul_i32 s14, s14, s4
	v_mov_b32_e32 v15, s33
	v_subrev_co_u32_e32 v14, vcc, s31, v2
	s_add_u32 s4, s31, s20
	s_nop 0
	v_subb_co_u32_e32 v15, vcc, v3, v15, vcc
	s_addc_u32 s8, s33, s21
	v_lshl_add_u64 v[14:15], v[14:15], 0, 1
	s_add_u32 s2, s4, s2
	v_ashrrev_i32_e32 v16, 31, v15
	s_addc_u32 s3, s8, s3
	v_xor_b32_e32 v14, v14, v16
	s_add_u32 s2, s2, s17
	v_xor_b32_e32 v15, v15, v16
	v_sub_co_u32_e32 v14, vcc, v14, v16
	s_addc_u32 s3, s3, s16
	s_nop 0
	v_subb_co_u32_e32 v15, vcc, v15, v16, vcc
	s_add_u32 s2, s2, s14
	s_addc_u32 s3, s3, s15
	v_lshl_add_u64 v[2:3], v[2:3], 0, v[14:15]
	v_mov_b32_e32 v14, s3
	v_sub_co_u32_e32 v2, vcc, s2, v2
	v_lshl_add_u64 v[0:1], v[0:1], 0, v[10:11]
	s_nop 0
	v_subb_co_u32_e32 v3, vcc, v14, v3, vcc
	v_lshl_add_u64 v[2:3], v[2:3], 0, v[12:13]
	v_mul_lo_u32 v12, v3, s12
	v_mul_lo_u32 v13, v2, s13
	v_mad_u64_u32 v[2:3], s[2:3], v2, s12, 0
	s_add_u32 s2, s5, s6
	s_addc_u32 s3, s30, s7
	s_not_b64 s[0:1], s[0:1]
	s_add_u32 s0, s2, s0
	s_addc_u32 s1, s3, s1
	s_add_u32 s0, s0, s11
	s_addc_u32 s1, s1, s10
	v_mov_b32_e32 v10, s1
	v_sub_co_u32_e32 v0, vcc, s0, v0
	v_add3_u32 v3, v3, v13, v12
	s_nop 0
	v_subb_co_u32_e32 v1, vcc, v10, v1, vcc
	v_lshl_add_u64 v[0:1], v[0:1], 3, v[4:5]
	v_lshl_add_u64 v[0:1], v[8:9], 3, v[0:1]
	;; [unrolled: 1-line block ×3, first 2 shown]
	s_waitcnt vmcnt(0)
	global_atomic_add_f64 v[0:1], v[6:7], off
.LBB12_5:
	s_endpgm
.LBB12_6:
                                        ; implicit-def: $vgpr2_vgpr3
	s_branch .LBB12_3
	.section	.rodata,"a",@progbits
	.p2align	6, 0x0
	.amdhsa_kernel _ZN2at6native12_GLOBAL__N_136reflection_pad2d_backward_out_kernelIdEEvPT_PKS3_lliiiiiii
		.amdhsa_group_segment_fixed_size 0
		.amdhsa_private_segment_fixed_size 0
		.amdhsa_kernarg_size 320
		.amdhsa_user_sgpr_count 2
		.amdhsa_user_sgpr_dispatch_ptr 0
		.amdhsa_user_sgpr_queue_ptr 0
		.amdhsa_user_sgpr_kernarg_segment_ptr 1
		.amdhsa_user_sgpr_dispatch_id 0
		.amdhsa_user_sgpr_kernarg_preload_length 0
		.amdhsa_user_sgpr_kernarg_preload_offset 0
		.amdhsa_user_sgpr_private_segment_size 0
		.amdhsa_uses_dynamic_stack 0
		.amdhsa_enable_private_segment 0
		.amdhsa_system_sgpr_workgroup_id_x 1
		.amdhsa_system_sgpr_workgroup_id_y 1
		.amdhsa_system_sgpr_workgroup_id_z 1
		.amdhsa_system_sgpr_workgroup_info 0
		.amdhsa_system_vgpr_workitem_id 0
		.amdhsa_next_free_vgpr 17
		.amdhsa_next_free_sgpr 41
		.amdhsa_accum_offset 20
		.amdhsa_reserve_vcc 1
		.amdhsa_float_round_mode_32 0
		.amdhsa_float_round_mode_16_64 0
		.amdhsa_float_denorm_mode_32 3
		.amdhsa_float_denorm_mode_16_64 3
		.amdhsa_dx10_clamp 1
		.amdhsa_ieee_mode 1
		.amdhsa_fp16_overflow 0
		.amdhsa_tg_split 0
		.amdhsa_exception_fp_ieee_invalid_op 0
		.amdhsa_exception_fp_denorm_src 0
		.amdhsa_exception_fp_ieee_div_zero 0
		.amdhsa_exception_fp_ieee_overflow 0
		.amdhsa_exception_fp_ieee_underflow 0
		.amdhsa_exception_fp_ieee_inexact 0
		.amdhsa_exception_int_div_zero 0
	.end_amdhsa_kernel
	.section	.text._ZN2at6native12_GLOBAL__N_136reflection_pad2d_backward_out_kernelIdEEvPT_PKS3_lliiiiiii,"axG",@progbits,_ZN2at6native12_GLOBAL__N_136reflection_pad2d_backward_out_kernelIdEEvPT_PKS3_lliiiiiii,comdat
.Lfunc_end12:
	.size	_ZN2at6native12_GLOBAL__N_136reflection_pad2d_backward_out_kernelIdEEvPT_PKS3_lliiiiiii, .Lfunc_end12-_ZN2at6native12_GLOBAL__N_136reflection_pad2d_backward_out_kernelIdEEvPT_PKS3_lliiiiiii
                                        ; -- End function
	.set _ZN2at6native12_GLOBAL__N_136reflection_pad2d_backward_out_kernelIdEEvPT_PKS3_lliiiiiii.num_vgpr, 17
	.set _ZN2at6native12_GLOBAL__N_136reflection_pad2d_backward_out_kernelIdEEvPT_PKS3_lliiiiiii.num_agpr, 0
	.set _ZN2at6native12_GLOBAL__N_136reflection_pad2d_backward_out_kernelIdEEvPT_PKS3_lliiiiiii.numbered_sgpr, 41
	.set _ZN2at6native12_GLOBAL__N_136reflection_pad2d_backward_out_kernelIdEEvPT_PKS3_lliiiiiii.num_named_barrier, 0
	.set _ZN2at6native12_GLOBAL__N_136reflection_pad2d_backward_out_kernelIdEEvPT_PKS3_lliiiiiii.private_seg_size, 0
	.set _ZN2at6native12_GLOBAL__N_136reflection_pad2d_backward_out_kernelIdEEvPT_PKS3_lliiiiiii.uses_vcc, 1
	.set _ZN2at6native12_GLOBAL__N_136reflection_pad2d_backward_out_kernelIdEEvPT_PKS3_lliiiiiii.uses_flat_scratch, 0
	.set _ZN2at6native12_GLOBAL__N_136reflection_pad2d_backward_out_kernelIdEEvPT_PKS3_lliiiiiii.has_dyn_sized_stack, 0
	.set _ZN2at6native12_GLOBAL__N_136reflection_pad2d_backward_out_kernelIdEEvPT_PKS3_lliiiiiii.has_recursion, 0
	.set _ZN2at6native12_GLOBAL__N_136reflection_pad2d_backward_out_kernelIdEEvPT_PKS3_lliiiiiii.has_indirect_call, 0
	.section	.AMDGPU.csdata,"",@progbits
; Kernel info:
; codeLenInByte = 1528
; TotalNumSgprs: 47
; NumVgprs: 17
; NumAgprs: 0
; TotalNumVgprs: 17
; ScratchSize: 0
; MemoryBound: 0
; FloatMode: 240
; IeeeMode: 1
; LDSByteSize: 0 bytes/workgroup (compile time only)
; SGPRBlocks: 5
; VGPRBlocks: 2
; NumSGPRsForWavesPerEU: 47
; NumVGPRsForWavesPerEU: 17
; AccumOffset: 20
; Occupancy: 8
; WaveLimiterHint : 0
; COMPUTE_PGM_RSRC2:SCRATCH_EN: 0
; COMPUTE_PGM_RSRC2:USER_SGPR: 2
; COMPUTE_PGM_RSRC2:TRAP_HANDLER: 0
; COMPUTE_PGM_RSRC2:TGID_X_EN: 1
; COMPUTE_PGM_RSRC2:TGID_Y_EN: 1
; COMPUTE_PGM_RSRC2:TGID_Z_EN: 1
; COMPUTE_PGM_RSRC2:TIDIG_COMP_CNT: 0
; COMPUTE_PGM_RSRC3_GFX90A:ACCUM_OFFSET: 4
; COMPUTE_PGM_RSRC3_GFX90A:TG_SPLIT: 0
	.section	.text._ZN2at6native12_GLOBAL__N_140reflection_pad2d_backward_det_out_kernelIfEEvPT_PKS3_lliiiiiii,"axG",@progbits,_ZN2at6native12_GLOBAL__N_140reflection_pad2d_backward_det_out_kernelIfEEvPT_PKS3_lliiiiiii,comdat
	.globl	_ZN2at6native12_GLOBAL__N_140reflection_pad2d_backward_det_out_kernelIfEEvPT_PKS3_lliiiiiii ; -- Begin function _ZN2at6native12_GLOBAL__N_140reflection_pad2d_backward_det_out_kernelIfEEvPT_PKS3_lliiiiiii
	.p2align	8
	.type	_ZN2at6native12_GLOBAL__N_140reflection_pad2d_backward_det_out_kernelIfEEvPT_PKS3_lliiiiiii,@function
_ZN2at6native12_GLOBAL__N_140reflection_pad2d_backward_det_out_kernelIfEEvPT_PKS3_lliiiiiii: ; @_ZN2at6native12_GLOBAL__N_140reflection_pad2d_backward_det_out_kernelIfEEvPT_PKS3_lliiiiiii
; %bb.0:
	s_load_dword s3, s[0:1], 0x4c
	s_load_dwordx2 s[12:13], s[0:1], 0x30
	s_load_dwordx8 s[4:11], s[0:1], 0x0
	s_add_u32 s20, s0, 64
	s_addc_u32 s21, s1, 0
	s_waitcnt lgkmcnt(0)
	s_and_b32 s3, s3, 0xffff
	s_mul_i32 s2, s2, s3
	s_mul_i32 s14, s10, s9
	s_mul_hi_u32 s15, s10, s8
	v_add_u32_e32 v0, s2, v0
	s_ashr_i32 s2, s12, 31
	s_add_i32 s33, s15, s14
	s_mul_i32 s14, s11, s8
	s_mul_i32 s54, s10, s8
	s_add_i32 s33, s33, s14
	s_mul_i32 s2, s54, s2
	s_mul_hi_u32 s15, s54, s12
	s_ashr_i32 s17, s13, 31
	s_mul_i32 s14, s33, s12
	s_add_i32 s2, s15, s2
	s_mul_i32 s12, s54, s12
	s_add_i32 s2, s2, s14
	s_mul_i32 s14, s12, s17
	s_mul_hi_u32 s15, s12, s13
	v_mov_b32_e32 v2, 0
	s_mul_i32 s2, s2, s13
	s_add_i32 s14, s15, s14
	v_mov_b32_e32 v1, v2
	s_add_i32 s19, s14, s2
	s_mul_i32 s18, s12, s13
	s_mov_b32 s16, s13
	v_cmp_gt_i64_e32 vcc, s[18:19], v[0:1]
	s_and_saveexec_b64 s[12:13], vcc
	s_cbranch_execz .LBB13_53
; %bb.1:
	s_load_dwordx4 s[12:15], s[0:1], 0x20
	s_load_dword s2, s[20:21], 0x0
	s_mul_i32 s58, s54, s16
	v_cvt_f32_u32_e32 v3, s58
	v_sub_co_u32_e32 v4, vcc, 0, v0
	s_waitcnt lgkmcnt(0)
	s_ashr_i32 s21, s14, 31
	s_add_u32 s30, s8, s14
	s_addc_u32 s31, s9, s21
	s_ashr_i32 s1, s15, 31
	s_add_u32 s55, s30, s15
	s_addc_u32 s56, s31, s1
	s_ashr_i32 s23, s12, 31
	s_mov_b32 s0, s15
	s_add_u32 s15, s10, s12
	s_addc_u32 s24, s11, s23
	s_ashr_i32 s35, s13, 31
	s_mov_b32 s34, s13
	s_add_u32 s13, s15, s13
	s_addc_u32 s15, s24, s35
	s_mul_i32 s15, s55, s15
	s_mul_hi_u32 s24, s55, s13
	s_add_i32 s15, s24, s15
	s_mul_i32 s24, s56, s13
	s_add_i32 s25, s15, s24
	s_add_u32 s28, s8, -1
	s_addc_u32 s29, s9, -1
	s_mul_i32 s24, s55, s13
	s_mul_hi_u32 s27, s3, s2
	s_mul_i32 s26, s3, s2
	s_add_u32 s13, s30, s28
	s_mul_i32 s2, s54, s17
	s_mul_hi_u32 s3, s54, s16
	s_addc_u32 s15, s31, s29
	s_add_i32 s2, s3, s2
	s_mul_i32 s3, s33, s16
	s_add_i32 s57, s2, s3
	s_add_u32 s30, s10, -1
	s_addc_u32 s31, s11, -1
	s_not_b64 s[2:3], s[34:35]
	s_add_u32 s34, s10, s2
	s_addc_u32 s35, s11, s3
	s_not_b64 s[0:1], s[0:1]
	s_add_u32 s36, s8, s0
	s_addc_u32 s37, s9, s1
	s_mul_i32 s0, s24, s17
	s_mul_hi_u32 s1, s24, s16
	s_add_i32 s0, s1, s0
	s_mul_i32 s1, s25, s16
	s_add_i32 s59, s0, s1
	s_add_u32 s61, s13, -1
	s_addc_u32 s62, s15, -1
	s_lshl_b64 s[0:1], s[30:31], 1
	s_add_u32 s63, s0, s12
	s_addc_u32 s64, s1, s23
	s_lshl_b64 s[0:1], s[28:29], 1
	v_rcp_iflag_f32_e32 v3, v3
	s_mov_b32 s22, s12
	s_add_u32 s12, s0, s14
	s_addc_u32 s13, s1, s21
	s_mov_b32 s20, s14
	s_sub_u32 s65, 0, s10
	v_subb_co_u32_e64 v5, s[0:1], 0, 0, vcc
	s_subb_u32 s66, 0, s11
	s_lshl_b64 s[38:39], s[16:17], 2
	s_lshl_b64 s[40:41], s[8:9], 2
	;; [unrolled: 1-line block ×3, first 2 shown]
	v_mul_f32_e32 v3, 0x4f7ffffe, v3
	s_add_u32 s42, s6, s0
	v_cvt_u32_f32_e32 v24, v3
	s_addc_u32 s43, s7, s1
	s_lshl_b64 s[44:45], s[26:27], 2
	s_sub_u32 s67, 0, s54
	s_mul_i32 s60, s24, s16
	s_mov_b64 s[14:15], 0
	v_lshlrev_b64 v[6:7], 2, v[0:1]
	s_subb_u32 s68, 0, s33
	s_branch .LBB13_4
.LBB13_2:                               ;   in Loop: Header=BB13_4 Depth=1
	s_or_b64 exec, exec, s[0:1]
.LBB13_3:                               ;   in Loop: Header=BB13_4 Depth=1
	s_or_b64 exec, exec, s[46:47]
	v_lshlrev_b64 v[10:11], 2, v[12:13]
	v_mul_lo_u32 v12, s38, v9
	v_mul_lo_u32 v13, s39, v8
	v_mad_u64_u32 v[8:9], s[0:1], s38, v8, v[10:11]
	v_add3_u32 v9, v13, v9, v12
	v_mul_lo_u32 v12, s41, v3
	v_mul_lo_u32 v13, s40, v25
	v_mad_u64_u32 v[10:11], s[0:1], s40, v3, 0
	v_add3_u32 v11, v11, v13, v12
	v_mul_lo_u32 v3, s24, v9
	v_mad_u64_u32 v[10:11], s[0:1], s24, v8, v[10:11]
	v_mul_lo_u32 v8, s25, v8
	v_add3_u32 v11, v8, v11, v3
	v_lshl_add_u64 v[8:9], v[18:19], 2, v[10:11]
	v_lshl_add_u64 v[8:9], v[6:7], 0, v[8:9]
	;; [unrolled: 1-line block ×3, first 2 shown]
	global_load_dword v3, v[8:9], off
	v_lshl_add_u64 v[8:9], s[4:5], 0, v[6:7]
	global_load_dword v10, v[8:9], off
	v_mov_b32_e32 v11, s27
	v_subrev_co_u32_e32 v4, vcc, s26, v4
	v_lshl_add_u64 v[0:1], v[0:1], 0, s[26:27]
	s_nop 0
	v_subb_co_u32_e32 v5, vcc, v5, v11, vcc
	v_cmp_le_i64_e32 vcc, s[18:19], v[0:1]
	s_or_b64 s[14:15], vcc, s[14:15]
	v_lshl_add_u64 v[6:7], v[6:7], 0, s[44:45]
	s_waitcnt vmcnt(1)
	v_add_f32_e32 v3, v26, v3
	s_waitcnt vmcnt(0)
	v_add_f32_e32 v3, v10, v3
	global_store_dword v[8:9], v3, off
	s_andn2_b64 exec, exec, s[14:15]
	s_cbranch_execz .LBB13_53
.LBB13_4:                               ; =>This Inner Loop Header: Depth=1
	v_or_b32_e32 v3, s57, v1
	v_cmp_ne_u64_e32 vcc, 0, v[2:3]
	v_ashrrev_i32_e32 v12, 31, v1
                                        ; implicit-def: $vgpr8_vgpr9
	s_and_saveexec_b64 s[0:1], vcc
	s_xor_b64 s[2:3], exec, s[0:1]
	s_cbranch_execz .LBB13_6
; %bb.5:                                ;   in Loop: Header=BB13_4 Depth=1
	s_ashr_i32 s46, s57, 31
	s_add_u32 s0, s58, s46
	s_mov_b32 s47, s46
	s_addc_u32 s1, s57, s46
	s_xor_b64 s[48:49], s[0:1], s[46:47]
	v_cvt_f32_u32_e32 v3, s48
	v_cvt_f32_u32_e32 v8, s49
	s_sub_u32 s47, 0, s48
	s_subb_u32 s50, 0, s49
	v_mov_b32_e32 v13, v12
	v_fmac_f32_e32 v3, 0x4f800000, v8
	v_rcp_f32_e32 v3, v3
	v_mov_b32_e32 v11, v2
	v_mul_f32_e32 v3, 0x5f7ffffc, v3
	v_mul_f32_e32 v8, 0x2f800000, v3
	v_trunc_f32_e32 v8, v8
	v_fmac_f32_e32 v3, 0xcf800000, v8
	v_cvt_u32_f32_e32 v8, v8
	v_cvt_u32_f32_e32 v3, v3
	v_readfirstlane_b32 s51, v8
	v_readfirstlane_b32 s0, v3
	s_mul_i32 s1, s47, s51
	s_mul_hi_u32 s53, s47, s0
	s_mul_i32 s52, s50, s0
	s_add_i32 s1, s53, s1
	s_add_i32 s1, s1, s52
	s_mul_i32 s69, s47, s0
	s_mul_i32 s53, s0, s1
	s_mul_hi_u32 s70, s0, s69
	s_mul_hi_u32 s52, s0, s1
	s_add_u32 s53, s70, s53
	s_addc_u32 s52, 0, s52
	s_mul_hi_u32 s71, s51, s69
	s_mul_i32 s69, s51, s69
	s_add_u32 s53, s53, s69
	s_mul_hi_u32 s70, s51, s1
	s_addc_u32 s52, s52, s71
	s_addc_u32 s53, s70, 0
	s_mul_i32 s1, s51, s1
	s_add_u32 s1, s52, s1
	s_addc_u32 s52, 0, s53
	s_add_u32 s53, s0, s1
	s_cselect_b64 s[0:1], -1, 0
	s_cmp_lg_u64 s[0:1], 0
	s_addc_u32 s51, s51, s52
	s_mul_i32 s0, s47, s51
	s_mul_hi_u32 s1, s47, s53
	s_add_i32 s0, s1, s0
	s_mul_i32 s50, s50, s53
	s_add_i32 s0, s0, s50
	s_mul_i32 s47, s47, s53
	s_mul_hi_u32 s50, s51, s47
	s_mul_i32 s52, s51, s47
	s_mul_i32 s70, s53, s0
	s_mul_hi_u32 s47, s53, s47
	s_mul_hi_u32 s69, s53, s0
	s_add_u32 s47, s47, s70
	s_addc_u32 s69, 0, s69
	s_add_u32 s47, s47, s52
	s_mul_hi_u32 s1, s51, s0
	s_addc_u32 s47, s69, s50
	s_addc_u32 s1, s1, 0
	s_mul_i32 s0, s51, s0
	s_add_u32 s0, s47, s0
	s_addc_u32 s47, 0, s1
	s_add_u32 s50, s53, s0
	s_cselect_b64 s[0:1], -1, 0
	s_cmp_lg_u64 s[0:1], 0
	v_lshl_add_u64 v[8:9], v[0:1], 0, v[12:13]
	s_addc_u32 s47, s51, s47
	v_xor_b32_e32 v13, v8, v12
	v_xor_b32_e32 v3, v9, v12
	v_mad_u64_u32 v[8:9], s[0:1], v13, s47, 0
	v_mul_hi_u32 v10, v13, s50
	v_lshl_add_u64 v[8:9], v[10:11], 0, v[8:9]
	v_mad_u64_u32 v[14:15], s[0:1], v3, s50, 0
	v_add_co_u32_e32 v8, vcc, v8, v14
	v_mad_u64_u32 v[10:11], s[0:1], v3, s47, 0
	s_nop 0
	v_addc_co_u32_e32 v8, vcc, v9, v15, vcc
	v_mov_b32_e32 v9, v2
	s_nop 0
	v_addc_co_u32_e32 v11, vcc, 0, v11, vcc
	v_lshl_add_u64 v[8:9], v[8:9], 0, v[10:11]
	v_mul_lo_u32 v14, s49, v8
	v_mul_lo_u32 v15, s48, v9
	v_mad_u64_u32 v[10:11], s[0:1], s48, v8, 0
	v_add3_u32 v16, v11, v15, v14
	v_sub_u32_e32 v11, v3, v16
	v_mov_b32_e32 v14, s49
	v_sub_co_u32_e32 v13, vcc, v13, v10
	s_nop 1
	v_subb_co_u32_e64 v10, s[0:1], v11, v14, vcc
	v_subrev_co_u32_e64 v11, s[0:1], s48, v13
	v_subb_co_u32_e32 v3, vcc, v3, v16, vcc
	s_nop 0
	v_subbrev_co_u32_e64 v10, s[0:1], 0, v10, s[0:1]
	v_cmp_le_u32_e64 s[0:1], s49, v10
	v_cmp_le_u32_e32 vcc, s49, v3
	s_nop 0
	v_cndmask_b32_e64 v14, 0, -1, s[0:1]
	v_cmp_le_u32_e64 s[0:1], s48, v11
	s_nop 1
	v_cndmask_b32_e64 v11, 0, -1, s[0:1]
	v_cmp_eq_u32_e64 s[0:1], s49, v10
	s_nop 1
	v_cndmask_b32_e64 v17, v14, v11, s[0:1]
	v_lshl_add_u64 v[10:11], v[8:9], 0, 2
	v_lshl_add_u64 v[14:15], v[8:9], 0, 1
	v_cmp_ne_u32_e64 s[0:1], 0, v17
	s_nop 1
	v_cndmask_b32_e64 v11, v15, v11, s[0:1]
	v_cndmask_b32_e64 v15, 0, -1, vcc
	v_cmp_le_u32_e32 vcc, s48, v13
	s_nop 1
	v_cndmask_b32_e64 v13, 0, -1, vcc
	v_cmp_eq_u32_e32 vcc, s49, v3
	s_nop 1
	v_cndmask_b32_e32 v3, v15, v13, vcc
	v_cmp_ne_u32_e32 vcc, 0, v3
	s_nop 1
	v_cndmask_b32_e32 v3, v9, v11, vcc
	v_cndmask_b32_e64 v9, v14, v10, s[0:1]
	v_cndmask_b32_e32 v8, v8, v9, vcc
	v_xor_b32_e32 v9, s46, v12
	v_xor_b32_e32 v8, v8, v9
	;; [unrolled: 1-line block ×3, first 2 shown]
	v_sub_co_u32_e32 v8, vcc, v8, v9
	s_nop 1
	v_subb_co_u32_e32 v9, vcc, v3, v9, vcc
.LBB13_6:                               ;   in Loop: Header=BB13_4 Depth=1
	s_andn2_saveexec_b64 s[0:1], s[2:3]
	s_cbranch_execz .LBB13_8
; %bb.7:                                ;   in Loop: Header=BB13_4 Depth=1
	s_sub_i32 s2, 0, s58
	v_mul_lo_u32 v3, s2, v24
	v_mul_hi_u32 v3, v24, v3
	v_add_u32_e32 v3, v24, v3
	v_mul_hi_u32 v3, v0, v3
	v_mul_lo_u32 v8, v3, s58
	v_sub_u32_e32 v8, v0, v8
	v_subrev_u32_e32 v9, s58, v8
	v_cmp_le_u32_e32 vcc, s58, v8
	s_nop 1
	v_cndmask_b32_e32 v8, v8, v9, vcc
	v_add_u32_e32 v9, 1, v3
	v_cndmask_b32_e32 v3, v3, v9, vcc
	v_add_u32_e32 v9, 1, v3
	v_cmp_le_u32_e32 vcc, s58, v8
	s_nop 1
	v_cndmask_b32_e32 v8, v3, v9, vcc
	v_mov_b32_e32 v9, v2
.LBB13_8:                               ;   in Loop: Header=BB13_4 Depth=1
	s_or_b64 exec, exec, s[0:1]
	v_or_b32_e32 v3, s33, v1
	v_cmp_ne_u64_e32 vcc, 0, v[2:3]
                                        ; implicit-def: $vgpr10_vgpr11
	s_and_saveexec_b64 s[0:1], vcc
	s_xor_b64 s[2:3], exec, s[0:1]
	s_cbranch_execz .LBB13_10
; %bb.9:                                ;   in Loop: Header=BB13_4 Depth=1
	s_ashr_i32 s46, s33, 31
	s_add_u32 s0, s54, s46
	s_mov_b32 s47, s46
	s_addc_u32 s1, s33, s46
	s_xor_b64 s[48:49], s[0:1], s[46:47]
	v_cvt_f32_u32_e32 v3, s48
	v_cvt_f32_u32_e32 v10, s49
	s_sub_u32 s47, 0, s48
	s_subb_u32 s50, 0, s49
	v_mov_b32_e32 v13, v12
	v_fmac_f32_e32 v3, 0x4f800000, v10
	v_rcp_f32_e32 v3, v3
	v_mov_b32_e32 v15, v2
	v_mul_f32_e32 v3, 0x5f7ffffc, v3
	v_mul_f32_e32 v10, 0x2f800000, v3
	v_trunc_f32_e32 v10, v10
	v_fmac_f32_e32 v3, 0xcf800000, v10
	v_cvt_u32_f32_e32 v10, v10
	v_cvt_u32_f32_e32 v3, v3
	v_readfirstlane_b32 s51, v10
	v_readfirstlane_b32 s0, v3
	s_mul_i32 s1, s47, s51
	s_mul_hi_u32 s53, s47, s0
	s_mul_i32 s52, s50, s0
	s_add_i32 s1, s53, s1
	s_add_i32 s1, s1, s52
	s_mul_i32 s69, s47, s0
	s_mul_i32 s53, s0, s1
	s_mul_hi_u32 s70, s0, s69
	s_mul_hi_u32 s52, s0, s1
	s_add_u32 s53, s70, s53
	s_addc_u32 s52, 0, s52
	s_mul_hi_u32 s71, s51, s69
	s_mul_i32 s69, s51, s69
	s_add_u32 s53, s53, s69
	s_mul_hi_u32 s70, s51, s1
	s_addc_u32 s52, s52, s71
	s_addc_u32 s53, s70, 0
	s_mul_i32 s1, s51, s1
	s_add_u32 s1, s52, s1
	s_addc_u32 s52, 0, s53
	s_add_u32 s53, s0, s1
	s_cselect_b64 s[0:1], -1, 0
	s_cmp_lg_u64 s[0:1], 0
	s_addc_u32 s51, s51, s52
	s_mul_i32 s0, s47, s51
	s_mul_hi_u32 s1, s47, s53
	s_add_i32 s0, s1, s0
	s_mul_i32 s50, s50, s53
	s_add_i32 s0, s0, s50
	s_mul_i32 s47, s47, s53
	s_mul_hi_u32 s50, s51, s47
	s_mul_i32 s52, s51, s47
	s_mul_i32 s70, s53, s0
	s_mul_hi_u32 s47, s53, s47
	s_mul_hi_u32 s69, s53, s0
	s_add_u32 s47, s47, s70
	s_addc_u32 s69, 0, s69
	s_add_u32 s47, s47, s52
	s_mul_hi_u32 s1, s51, s0
	s_addc_u32 s47, s69, s50
	s_addc_u32 s1, s1, 0
	s_mul_i32 s0, s51, s0
	s_add_u32 s0, s47, s0
	s_addc_u32 s47, 0, s1
	s_add_u32 s50, s53, s0
	s_cselect_b64 s[0:1], -1, 0
	s_cmp_lg_u64 s[0:1], 0
	v_lshl_add_u64 v[10:11], v[0:1], 0, v[12:13]
	s_addc_u32 s47, s51, s47
	v_xor_b32_e32 v13, v10, v12
	v_xor_b32_e32 v3, v11, v12
	v_mad_u64_u32 v[10:11], s[0:1], v13, s47, 0
	v_mul_hi_u32 v14, v13, s50
	v_lshl_add_u64 v[10:11], v[14:15], 0, v[10:11]
	v_mad_u64_u32 v[16:17], s[0:1], v3, s50, 0
	v_add_co_u32_e32 v10, vcc, v10, v16
	v_mad_u64_u32 v[14:15], s[0:1], v3, s47, 0
	s_nop 0
	v_addc_co_u32_e32 v10, vcc, v11, v17, vcc
	v_mov_b32_e32 v11, v2
	s_nop 0
	v_addc_co_u32_e32 v15, vcc, 0, v15, vcc
	v_lshl_add_u64 v[10:11], v[10:11], 0, v[14:15]
	v_mul_lo_u32 v16, s49, v10
	v_mul_lo_u32 v17, s48, v11
	v_mad_u64_u32 v[14:15], s[0:1], s48, v10, 0
	v_add3_u32 v18, v15, v17, v16
	v_sub_u32_e32 v15, v3, v18
	v_mov_b32_e32 v16, s49
	v_sub_co_u32_e32 v13, vcc, v13, v14
	s_nop 1
	v_subb_co_u32_e64 v14, s[0:1], v15, v16, vcc
	v_subrev_co_u32_e64 v15, s[0:1], s48, v13
	v_subb_co_u32_e32 v3, vcc, v3, v18, vcc
	s_nop 0
	v_subbrev_co_u32_e64 v14, s[0:1], 0, v14, s[0:1]
	v_cmp_le_u32_e64 s[0:1], s49, v14
	v_cmp_le_u32_e32 vcc, s49, v3
	s_nop 0
	v_cndmask_b32_e64 v16, 0, -1, s[0:1]
	v_cmp_le_u32_e64 s[0:1], s48, v15
	s_nop 1
	v_cndmask_b32_e64 v15, 0, -1, s[0:1]
	v_cmp_eq_u32_e64 s[0:1], s49, v14
	s_nop 1
	v_cndmask_b32_e64 v19, v16, v15, s[0:1]
	v_lshl_add_u64 v[14:15], v[10:11], 0, 2
	v_lshl_add_u64 v[16:17], v[10:11], 0, 1
	v_cmp_ne_u32_e64 s[0:1], 0, v19
	s_nop 1
	v_cndmask_b32_e64 v15, v17, v15, s[0:1]
	v_cndmask_b32_e64 v17, 0, -1, vcc
	v_cmp_le_u32_e32 vcc, s48, v13
	s_nop 1
	v_cndmask_b32_e64 v13, 0, -1, vcc
	v_cmp_eq_u32_e32 vcc, s49, v3
	s_nop 1
	v_cndmask_b32_e32 v3, v17, v13, vcc
	v_cmp_ne_u32_e32 vcc, 0, v3
	s_nop 1
	v_cndmask_b32_e32 v3, v11, v15, vcc
	v_cndmask_b32_e64 v11, v16, v14, s[0:1]
	v_cndmask_b32_e32 v10, v10, v11, vcc
	v_xor_b32_e32 v11, s46, v12
	v_xor_b32_e32 v10, v10, v11
	v_xor_b32_e32 v3, v3, v11
	v_sub_co_u32_e32 v10, vcc, v10, v11
	s_nop 1
	v_subb_co_u32_e32 v11, vcc, v3, v11, vcc
.LBB13_10:                              ;   in Loop: Header=BB13_4 Depth=1
	s_andn2_saveexec_b64 s[0:1], s[2:3]
	s_cbranch_execz .LBB13_12
; %bb.11:                               ;   in Loop: Header=BB13_4 Depth=1
	v_cvt_f32_u32_e32 v3, s54
	s_sub_i32 s2, 0, s54
	v_rcp_iflag_f32_e32 v3, v3
	s_nop 0
	v_mul_f32_e32 v3, 0x4f7ffffe, v3
	v_cvt_u32_f32_e32 v3, v3
	v_mul_lo_u32 v10, s2, v3
	v_mul_hi_u32 v10, v3, v10
	v_add_u32_e32 v3, v3, v10
	v_mul_hi_u32 v3, v0, v3
	v_mul_lo_u32 v10, v3, s54
	v_sub_u32_e32 v10, v0, v10
	v_add_u32_e32 v11, 1, v3
	v_subrev_u32_e32 v12, s54, v10
	v_cmp_le_u32_e32 vcc, s54, v10
	s_nop 1
	v_cndmask_b32_e32 v10, v10, v12, vcc
	v_cndmask_b32_e32 v3, v3, v11, vcc
	v_add_u32_e32 v11, 1, v3
	v_cmp_le_u32_e32 vcc, s54, v10
	s_nop 1
	v_cndmask_b32_e32 v10, v3, v11, vcc
	v_mov_b32_e32 v11, v2
.LBB13_12:                              ;   in Loop: Header=BB13_4 Depth=1
	s_or_b64 exec, exec, s[0:1]
	v_or_b32_e32 v3, s17, v11
	v_cmp_ne_u64_e32 vcc, 0, v[2:3]
                                        ; implicit-def: $vgpr12_vgpr13
	s_and_saveexec_b64 s[0:1], vcc
	s_xor_b64 s[46:47], exec, s[0:1]
	s_cbranch_execz .LBB13_14
; %bb.13:                               ;   in Loop: Header=BB13_4 Depth=1
	s_ashr_i32 s0, s17, 31
	s_add_u32 s2, s16, s0
	s_mov_b32 s1, s0
	s_addc_u32 s3, s17, s0
	s_xor_b64 s[48:49], s[2:3], s[0:1]
	v_cvt_f32_u32_e32 v3, s48
	v_cvt_f32_u32_e32 v12, s49
	s_sub_u32 s2, 0, s48
	s_subb_u32 s3, 0, s49
	v_ashrrev_i32_e32 v14, 31, v11
	v_fmac_f32_e32 v3, 0x4f800000, v12
	v_rcp_f32_e32 v3, v3
	v_mov_b32_e32 v15, v14
	v_mov_b32_e32 v17, v2
	v_mul_f32_e32 v3, 0x5f7ffffc, v3
	v_mul_f32_e32 v12, 0x2f800000, v3
	v_trunc_f32_e32 v12, v12
	v_fmac_f32_e32 v3, 0xcf800000, v12
	v_cvt_u32_f32_e32 v12, v12
	v_cvt_u32_f32_e32 v3, v3
	v_readfirstlane_b32 s50, v12
	v_readfirstlane_b32 s0, v3
	s_mul_i32 s1, s2, s50
	s_mul_hi_u32 s52, s2, s0
	s_mul_i32 s51, s3, s0
	s_add_i32 s1, s52, s1
	s_add_i32 s1, s1, s51
	s_mul_i32 s53, s2, s0
	s_mul_i32 s52, s0, s1
	s_mul_hi_u32 s69, s0, s53
	s_mul_hi_u32 s51, s0, s1
	s_add_u32 s52, s69, s52
	s_addc_u32 s51, 0, s51
	s_mul_hi_u32 s70, s50, s53
	s_mul_i32 s53, s50, s53
	s_add_u32 s52, s52, s53
	s_mul_hi_u32 s69, s50, s1
	s_addc_u32 s51, s51, s70
	s_addc_u32 s52, s69, 0
	s_mul_i32 s1, s50, s1
	s_add_u32 s1, s51, s1
	s_addc_u32 s51, 0, s52
	s_add_u32 s52, s0, s1
	s_cselect_b64 s[0:1], -1, 0
	s_cmp_lg_u64 s[0:1], 0
	s_addc_u32 s50, s50, s51
	s_mul_i32 s0, s2, s50
	s_mul_hi_u32 s1, s2, s52
	s_add_i32 s0, s1, s0
	s_mul_i32 s3, s3, s52
	s_add_i32 s0, s0, s3
	s_mul_i32 s2, s2, s52
	s_mul_hi_u32 s3, s50, s2
	s_mul_i32 s51, s50, s2
	s_mul_i32 s69, s52, s0
	s_mul_hi_u32 s2, s52, s2
	s_mul_hi_u32 s53, s52, s0
	s_add_u32 s2, s2, s69
	s_addc_u32 s53, 0, s53
	s_add_u32 s2, s2, s51
	s_mul_hi_u32 s1, s50, s0
	s_addc_u32 s2, s53, s3
	s_addc_u32 s1, s1, 0
	s_mul_i32 s0, s50, s0
	s_add_u32 s0, s2, s0
	s_addc_u32 s2, 0, s1
	s_add_u32 s3, s52, s0
	s_cselect_b64 s[0:1], -1, 0
	s_cmp_lg_u64 s[0:1], 0
	v_lshl_add_u64 v[12:13], v[10:11], 0, v[14:15]
	s_addc_u32 s2, s50, s2
	v_xor_b32_e32 v15, v12, v14
	v_xor_b32_e32 v3, v13, v14
	v_mad_u64_u32 v[12:13], s[0:1], v15, s2, 0
	v_mul_hi_u32 v16, v15, s3
	v_lshl_add_u64 v[12:13], v[16:17], 0, v[12:13]
	v_mad_u64_u32 v[18:19], s[0:1], v3, s3, 0
	v_add_co_u32_e32 v12, vcc, v12, v18
	v_mad_u64_u32 v[16:17], s[0:1], v3, s2, 0
	s_nop 0
	v_addc_co_u32_e32 v12, vcc, v13, v19, vcc
	v_mov_b32_e32 v13, v2
	s_nop 0
	v_addc_co_u32_e32 v17, vcc, 0, v17, vcc
	v_lshl_add_u64 v[12:13], v[12:13], 0, v[16:17]
	v_mul_lo_u32 v16, s49, v12
	v_mul_lo_u32 v17, s48, v13
	v_mad_u64_u32 v[12:13], s[0:1], s48, v12, 0
	v_add3_u32 v13, v13, v17, v16
	v_sub_u32_e32 v16, v3, v13
	v_mov_b32_e32 v17, s49
	v_sub_co_u32_e32 v12, vcc, v15, v12
	s_nop 1
	v_subb_co_u32_e64 v15, s[0:1], v16, v17, vcc
	v_subrev_co_u32_e64 v16, s[0:1], s48, v12
	v_subb_co_u32_e32 v3, vcc, v3, v13, vcc
	s_nop 0
	v_subbrev_co_u32_e64 v18, s[2:3], 0, v15, s[0:1]
	v_cmp_le_u32_e64 s[2:3], s49, v18
	v_subb_co_u32_e64 v15, s[0:1], v15, v17, s[0:1]
	s_nop 0
	v_cndmask_b32_e64 v19, 0, -1, s[2:3]
	v_cmp_le_u32_e64 s[2:3], s48, v16
	v_subrev_co_u32_e64 v17, s[0:1], s48, v16
	s_nop 0
	v_cndmask_b32_e64 v20, 0, -1, s[2:3]
	v_cmp_eq_u32_e64 s[2:3], s49, v18
	v_subbrev_co_u32_e64 v15, s[0:1], 0, v15, s[0:1]
	s_nop 0
	v_cndmask_b32_e64 v19, v19, v20, s[2:3]
	v_cmp_le_u32_e32 vcc, s49, v3
	v_cmp_ne_u32_e64 s[0:1], 0, v19
	s_nop 0
	v_cndmask_b32_e64 v13, 0, -1, vcc
	v_cmp_le_u32_e32 vcc, s48, v12
	v_cndmask_b32_e64 v15, v18, v15, s[0:1]
	s_nop 0
	v_cndmask_b32_e64 v18, 0, -1, vcc
	v_cmp_eq_u32_e32 vcc, s49, v3
	s_nop 1
	v_cndmask_b32_e32 v13, v13, v18, vcc
	v_cmp_ne_u32_e32 vcc, 0, v13
	v_cndmask_b32_e64 v13, v16, v17, s[0:1]
	s_nop 0
	v_cndmask_b32_e32 v12, v12, v13, vcc
	v_cndmask_b32_e32 v3, v3, v15, vcc
	v_xor_b32_e32 v12, v12, v14
	v_xor_b32_e32 v3, v3, v14
	v_sub_co_u32_e32 v12, vcc, v12, v14
	s_nop 1
	v_subb_co_u32_e32 v13, vcc, v3, v14, vcc
.LBB13_14:                              ;   in Loop: Header=BB13_4 Depth=1
	s_andn2_saveexec_b64 s[0:1], s[46:47]
	s_cbranch_execz .LBB13_16
; %bb.15:                               ;   in Loop: Header=BB13_4 Depth=1
	v_cvt_f32_u32_e32 v3, s16
	s_sub_i32 s2, 0, s16
	v_mov_b32_e32 v13, v2
	v_rcp_iflag_f32_e32 v3, v3
	s_nop 0
	v_mul_f32_e32 v3, 0x4f7ffffe, v3
	v_cvt_u32_f32_e32 v3, v3
	v_mul_lo_u32 v12, s2, v3
	v_mul_hi_u32 v12, v3, v12
	v_add_u32_e32 v3, v3, v12
	v_mul_hi_u32 v3, v10, v3
	v_mul_lo_u32 v3, v3, s16
	v_sub_u32_e32 v3, v10, v3
	v_subrev_u32_e32 v12, s16, v3
	v_cmp_le_u32_e32 vcc, s16, v3
	s_nop 1
	v_cndmask_b32_e32 v3, v3, v12, vcc
	v_subrev_u32_e32 v12, s16, v3
	v_cmp_le_u32_e32 vcc, s16, v3
	s_nop 1
	v_cndmask_b32_e32 v12, v3, v12, vcc
.LBB13_16:                              ;   in Loop: Header=BB13_4 Depth=1
	s_or_b64 exec, exec, s[0:1]
	v_mad_u64_u32 v[16:17], s[0:1], s67, v10, v[0:1]
	v_mul_lo_u32 v3, s67, v11
	v_mul_lo_u32 v14, s68, v10
	v_add3_u32 v17, v14, v17, v3
	v_or_b32_e32 v3, s9, v17
	v_cmp_ne_u64_e32 vcc, 0, v[2:3]
                                        ; implicit-def: $vgpr14_vgpr15
	s_and_saveexec_b64 s[0:1], vcc
	s_xor_b64 s[2:3], exec, s[0:1]
	s_cbranch_execz .LBB13_18
; %bb.17:                               ;   in Loop: Header=BB13_4 Depth=1
	s_ashr_i32 s46, s9, 31
	s_add_u32 s0, s8, s46
	s_mov_b32 s47, s46
	s_addc_u32 s1, s9, s46
	s_xor_b64 s[48:49], s[0:1], s[46:47]
	v_cvt_f32_u32_e32 v3, s48
	v_cvt_f32_u32_e32 v14, s49
	s_sub_u32 s47, 0, s48
	s_subb_u32 s50, 0, s49
	v_mov_b32_e32 v19, v2
	v_fmac_f32_e32 v3, 0x4f800000, v14
	v_rcp_f32_e32 v3, v3
	s_nop 0
	v_mul_f32_e32 v3, 0x5f7ffffc, v3
	v_mul_f32_e32 v14, 0x2f800000, v3
	v_trunc_f32_e32 v14, v14
	v_fmac_f32_e32 v3, 0xcf800000, v14
	v_cvt_u32_f32_e32 v14, v14
	v_cvt_u32_f32_e32 v3, v3
	v_readfirstlane_b32 s51, v14
	v_readfirstlane_b32 s0, v3
	s_mul_i32 s1, s47, s51
	s_mul_hi_u32 s53, s47, s0
	s_mul_i32 s52, s50, s0
	s_add_i32 s1, s53, s1
	s_add_i32 s1, s1, s52
	s_mul_i32 s69, s47, s0
	s_mul_i32 s53, s0, s1
	s_mul_hi_u32 s70, s0, s69
	s_mul_hi_u32 s52, s0, s1
	s_add_u32 s53, s70, s53
	s_addc_u32 s52, 0, s52
	s_mul_hi_u32 s71, s51, s69
	s_mul_i32 s69, s51, s69
	s_add_u32 s53, s53, s69
	s_mul_hi_u32 s70, s51, s1
	s_addc_u32 s52, s52, s71
	s_addc_u32 s53, s70, 0
	s_mul_i32 s1, s51, s1
	s_add_u32 s1, s52, s1
	s_addc_u32 s52, 0, s53
	s_add_u32 s53, s0, s1
	s_cselect_b64 s[0:1], -1, 0
	s_cmp_lg_u64 s[0:1], 0
	s_addc_u32 s51, s51, s52
	s_mul_i32 s0, s47, s51
	s_mul_hi_u32 s1, s47, s53
	s_add_i32 s0, s1, s0
	s_mul_i32 s50, s50, s53
	s_add_i32 s0, s0, s50
	s_mul_i32 s47, s47, s53
	s_mul_hi_u32 s50, s51, s47
	s_mul_i32 s52, s51, s47
	s_mul_i32 s70, s53, s0
	s_mul_hi_u32 s47, s53, s47
	s_mul_hi_u32 s69, s53, s0
	s_add_u32 s47, s47, s70
	s_addc_u32 s69, 0, s69
	s_add_u32 s47, s47, s52
	s_mul_hi_u32 s1, s51, s0
	s_addc_u32 s47, s69, s50
	s_addc_u32 s1, s1, 0
	s_mul_i32 s0, s51, s0
	s_add_u32 s0, s47, s0
	s_addc_u32 s47, 0, s1
	s_add_u32 s50, s53, s0
	v_ashrrev_i32_e32 v14, 31, v17
	s_cselect_b64 s[0:1], -1, 0
	v_mov_b32_e32 v15, v14
	s_cmp_lg_u64 s[0:1], 0
	v_lshl_add_u64 v[16:17], v[16:17], 0, v[14:15]
	s_addc_u32 s47, s51, s47
	v_xor_b32_e32 v15, v16, v14
	v_xor_b32_e32 v3, v17, v14
	v_mad_u64_u32 v[16:17], s[0:1], v15, s47, 0
	v_mul_hi_u32 v18, v15, s50
	v_lshl_add_u64 v[16:17], v[18:19], 0, v[16:17]
	v_mad_u64_u32 v[20:21], s[0:1], v3, s50, 0
	v_add_co_u32_e32 v16, vcc, v16, v20
	v_mad_u64_u32 v[18:19], s[0:1], v3, s47, 0
	s_nop 0
	v_addc_co_u32_e32 v16, vcc, v17, v21, vcc
	v_mov_b32_e32 v17, v2
	s_nop 0
	v_addc_co_u32_e32 v19, vcc, 0, v19, vcc
	v_lshl_add_u64 v[16:17], v[16:17], 0, v[18:19]
	v_mul_lo_u32 v20, s49, v16
	v_mul_lo_u32 v21, s48, v17
	v_mad_u64_u32 v[18:19], s[0:1], s48, v16, 0
	v_add3_u32 v22, v19, v21, v20
	v_sub_u32_e32 v19, v3, v22
	v_mov_b32_e32 v20, s49
	v_sub_co_u32_e32 v15, vcc, v15, v18
	s_nop 1
	v_subb_co_u32_e64 v18, s[0:1], v19, v20, vcc
	v_subrev_co_u32_e64 v19, s[0:1], s48, v15
	v_subb_co_u32_e32 v3, vcc, v3, v22, vcc
	s_nop 0
	v_subbrev_co_u32_e64 v18, s[0:1], 0, v18, s[0:1]
	v_cmp_le_u32_e64 s[0:1], s49, v18
	v_cmp_le_u32_e32 vcc, s49, v3
	s_nop 0
	v_cndmask_b32_e64 v20, 0, -1, s[0:1]
	v_cmp_le_u32_e64 s[0:1], s48, v19
	s_nop 1
	v_cndmask_b32_e64 v19, 0, -1, s[0:1]
	v_cmp_eq_u32_e64 s[0:1], s49, v18
	s_nop 1
	v_cndmask_b32_e64 v23, v20, v19, s[0:1]
	v_lshl_add_u64 v[18:19], v[16:17], 0, 2
	v_lshl_add_u64 v[20:21], v[16:17], 0, 1
	v_cmp_ne_u32_e64 s[0:1], 0, v23
	s_nop 1
	v_cndmask_b32_e64 v19, v21, v19, s[0:1]
	v_cndmask_b32_e64 v21, 0, -1, vcc
	v_cmp_le_u32_e32 vcc, s48, v15
	s_nop 1
	v_cndmask_b32_e64 v15, 0, -1, vcc
	v_cmp_eq_u32_e32 vcc, s49, v3
	s_nop 1
	v_cndmask_b32_e32 v3, v21, v15, vcc
	v_cmp_ne_u32_e32 vcc, 0, v3
	v_cndmask_b32_e64 v15, v20, v18, s[0:1]
	s_nop 0
	v_cndmask_b32_e32 v15, v16, v15, vcc
	v_xor_b32_e32 v16, s46, v14
	v_cndmask_b32_e32 v3, v17, v19, vcc
	v_xor_b32_e32 v14, v15, v16
	v_xor_b32_e32 v3, v3, v16
	v_sub_co_u32_e32 v14, vcc, v14, v16
	s_nop 1
	v_subb_co_u32_e32 v15, vcc, v3, v16, vcc
                                        ; implicit-def: $vgpr16_vgpr17
.LBB13_18:                              ;   in Loop: Header=BB13_4 Depth=1
	s_andn2_saveexec_b64 s[0:1], s[2:3]
	s_cbranch_execz .LBB13_20
; %bb.19:                               ;   in Loop: Header=BB13_4 Depth=1
	v_cvt_f32_u32_e32 v3, s8
	s_sub_i32 s2, 0, s8
	v_rcp_iflag_f32_e32 v3, v3
	s_nop 0
	v_mul_f32_e32 v3, 0x4f7ffffe, v3
	v_cvt_u32_f32_e32 v3, v3
	v_mul_lo_u32 v14, s2, v3
	v_mul_hi_u32 v14, v3, v14
	v_add_u32_e32 v3, v3, v14
	v_mul_hi_u32 v3, v16, v3
	v_mul_lo_u32 v14, v3, s8
	v_sub_u32_e32 v14, v16, v14
	v_add_u32_e32 v15, 1, v3
	v_subrev_u32_e32 v16, s8, v14
	v_cmp_le_u32_e32 vcc, s8, v14
	s_nop 1
	v_cndmask_b32_e32 v14, v14, v16, vcc
	v_cndmask_b32_e32 v3, v3, v15, vcc
	v_add_u32_e32 v15, 1, v3
	v_cmp_le_u32_e32 vcc, s8, v14
	s_nop 1
	v_cndmask_b32_e32 v14, v3, v15, vcc
	v_mov_b32_e32 v15, v2
.LBB13_20:                              ;   in Loop: Header=BB13_4 Depth=1
	s_or_b64 exec, exec, s[0:1]
	v_mul_lo_u32 v3, v11, s54
	v_mul_lo_u32 v18, v10, s33
	v_mad_u64_u32 v[16:17], s[0:1], v10, s54, 0
	v_add3_u32 v3, v17, v18, v3
	v_sub_co_u32_e32 v18, vcc, v0, v16
	v_mul_lo_u32 v19, v15, s8
	s_nop 0
	v_subb_co_u32_e32 v3, vcc, v1, v3, vcc
	v_mul_lo_u32 v20, v14, s9
	v_mad_u64_u32 v[16:17], s[0:1], v14, s8, 0
	v_add3_u32 v17, v17, v20, v19
	v_sub_co_u32_e32 v27, vcc, v18, v16
	v_mul_lo_u32 v18, s65, v11
	s_nop 0
	v_subb_co_u32_e32 v28, vcc, v3, v17, vcc
	;; [unrolled: 7-line block ×3, first 2 shown]
	v_mul_lo_u32 v21, s8, v25
	v_mad_u64_u32 v[16:17], s[0:1], s8, v3, 0
	v_mad_u64_u32 v[18:19], s[0:1], s8, v3, v[0:1]
	v_add3_u32 v17, v17, v21, v20
	v_add3_u32 v19, v20, v19, v21
	v_cmp_lt_i64_e32 vcc, 0, v[14:15]
	v_cmp_ge_i64_e64 s[0:1], s[22:23], v[14:15]
	s_and_b64 s[50:51], vcc, s[0:1]
	v_cmp_eq_u64_e32 vcc, v[16:17], v[4:5]
	v_cmp_lt_i64_e64 s[0:1], s[20:21], v[18:19]
	s_or_b64 s[46:47], vcc, s[0:1]
	v_cmp_gt_i64_e32 vcc, s[28:29], v[18:19]
	v_cmp_le_i64_e64 s[0:1], s[36:37], v[18:19]
	s_and_b64 s[2:3], vcc, s[0:1]
	v_mov_b32_e32 v26, 0
	v_lshl_add_u64 v[18:19], s[20:21], 0, v[0:1]
	s_and_saveexec_b64 s[48:49], s[50:51]
	s_cbranch_execz .LBB13_28
; %bb.21:                               ;   in Loop: Header=BB13_4 Depth=1
	v_mov_b32_e32 v20, s23
	v_sub_co_u32_e32 v22, vcc, s22, v14
	v_mul_lo_u32 v30, v22, s56
	s_nop 0
	v_subb_co_u32_e32 v20, vcc, v20, v15, vcc
	v_mul_lo_u32 v29, v20, s55
	v_mad_u64_u32 v[20:21], s[0:1], v22, s55, v[16:17]
	v_add3_u32 v21, v29, v21, v30
	v_lshl_add_u64 v[20:21], v[18:19], 0, v[20:21]
	v_cmp_gt_i64_e32 vcc, s[24:25], v[20:21]
	v_mov_b32_e32 v26, 0
	s_and_saveexec_b64 s[0:1], vcc
	s_cbranch_execz .LBB13_23
; %bb.22:                               ;   in Loop: Header=BB13_4 Depth=1
	v_mul_lo_u32 v23, s59, v8
	v_mul_lo_u32 v26, s60, v9
	v_mad_u64_u32 v[32:33], s[50:51], s60, v8, 0
	v_add3_u32 v33, v33, v26, v23
	v_mul_lo_u32 v23, v13, s24
	v_mul_lo_u32 v26, v12, s25
	v_mad_u64_u32 v[34:35], s[50:51], v12, s24, 0
	v_add3_u32 v35, v35, v26, v23
	v_lshl_add_u64 v[32:33], v[32:33], 2, s[6:7]
	v_lshl_add_u64 v[32:33], v[34:35], 2, v[32:33]
	v_lshl_add_u64 v[20:21], v[20:21], 2, v[32:33]
	global_load_dword v20, v[20:21], off
	s_waitcnt vmcnt(0)
	v_add_f32_e32 v26, 0, v20
.LBB13_23:                              ;   in Loop: Header=BB13_4 Depth=1
	s_or_b64 exec, exec, s[0:1]
	v_mad_u64_u32 v[22:23], s[0:1], v22, s55, 0
	v_add3_u32 v23, v23, v30, v29
	s_mov_b64 s[52:53], 0
                                        ; implicit-def: $vgpr20_vgpr21
	s_and_saveexec_b64 s[0:1], s[46:47]
	s_xor_b64 s[50:51], exec, s[0:1]
	s_cbranch_execnz .LBB13_45
; %bb.24:                               ;   in Loop: Header=BB13_4 Depth=1
	s_andn2_saveexec_b64 s[50:51], s[50:51]
	s_cbranch_execnz .LBB13_48
.LBB13_25:                              ;   in Loop: Header=BB13_4 Depth=1
	s_or_b64 exec, exec, s[50:51]
	s_and_saveexec_b64 s[0:1], s[52:53]
	s_cbranch_execz .LBB13_27
.LBB13_26:                              ;   in Loop: Header=BB13_4 Depth=1
	v_mul_lo_u32 v29, s59, v8
	v_mul_lo_u32 v30, s60, v9
	v_mad_u64_u32 v[22:23], s[50:51], s60, v8, 0
	v_add3_u32 v23, v23, v30, v29
	v_mul_lo_u32 v29, v13, s24
	v_mul_lo_u32 v32, v12, s25
	v_mad_u64_u32 v[30:31], s[50:51], v12, s24, 0
	v_add3_u32 v31, v31, v32, v29
	v_lshl_add_u64 v[22:23], v[22:23], 2, s[6:7]
	v_lshl_add_u64 v[22:23], v[30:31], 2, v[22:23]
	;; [unrolled: 1-line block ×3, first 2 shown]
	global_load_dword v20, v[20:21], off
	s_waitcnt vmcnt(0)
	v_add_f32_e32 v26, v26, v20
.LBB13_27:                              ;   in Loop: Header=BB13_4 Depth=1
	s_or_b64 exec, exec, s[0:1]
.LBB13_28:                              ;   in Loop: Header=BB13_4 Depth=1
	s_or_b64 exec, exec, s[48:49]
	v_cmp_gt_i64_e32 vcc, s[30:31], v[14:15]
	v_cmp_le_i64_e64 s[0:1], s[34:35], v[14:15]
	s_and_b64 s[0:1], vcc, s[0:1]
	s_and_saveexec_b64 s[48:49], s[0:1]
	s_cbranch_execz .LBB13_36
; %bb.29:                               ;   in Loop: Header=BB13_4 Depth=1
	v_mov_b32_e32 v21, s64
	v_sub_co_u32_e32 v20, vcc, s63, v14
	v_mul_lo_u32 v22, s56, v20
	s_nop 0
	v_subb_co_u32_e32 v21, vcc, v21, v15, vcc
	v_mul_lo_u32 v23, s55, v21
	v_mad_u64_u32 v[30:31], s[0:1], s55, v20, v[16:17]
	v_add3_u32 v31, v22, v31, v23
	v_lshl_add_u64 v[18:19], v[18:19], 0, v[30:31]
	v_cmp_lt_i64_e32 vcc, -1, v[18:19]
	v_cmp_gt_i64_e64 s[0:1], s[24:25], v[18:19]
	s_and_b64 s[50:51], vcc, s[0:1]
	s_and_saveexec_b64 s[0:1], s[50:51]
	s_cbranch_execz .LBB13_31
; %bb.30:                               ;   in Loop: Header=BB13_4 Depth=1
	v_mul_lo_u32 v21, s59, v8
	v_mul_lo_u32 v29, s60, v9
	v_mad_u64_u32 v[30:31], s[50:51], s60, v8, 0
	v_add3_u32 v31, v31, v29, v21
	v_mul_lo_u32 v21, v13, s24
	v_mul_lo_u32 v29, v12, s25
	v_mad_u64_u32 v[32:33], s[50:51], v12, s24, 0
	v_add3_u32 v33, v33, v29, v21
	v_lshl_add_u64 v[30:31], v[30:31], 2, s[6:7]
	v_lshl_add_u64 v[30:31], v[32:33], 2, v[30:31]
	;; [unrolled: 1-line block ×3, first 2 shown]
	global_load_dword v18, v[18:19], off
	s_waitcnt vmcnt(0)
	v_add_f32_e32 v26, v26, v18
.LBB13_31:                              ;   in Loop: Header=BB13_4 Depth=1
	s_or_b64 exec, exec, s[0:1]
	v_mad_u64_u32 v[20:21], s[0:1], s55, v20, 0
	v_add3_u32 v21, v21, v23, v22
	s_mov_b64 s[52:53], 0
                                        ; implicit-def: $vgpr18_vgpr19
	s_and_saveexec_b64 s[0:1], s[46:47]
	s_xor_b64 s[50:51], exec, s[0:1]
	s_cbranch_execnz .LBB13_49
; %bb.32:                               ;   in Loop: Header=BB13_4 Depth=1
	s_andn2_saveexec_b64 s[50:51], s[50:51]
	s_cbranch_execnz .LBB13_52
.LBB13_33:                              ;   in Loop: Header=BB13_4 Depth=1
	s_or_b64 exec, exec, s[50:51]
	s_and_saveexec_b64 s[0:1], s[52:53]
	s_cbranch_execz .LBB13_35
.LBB13_34:                              ;   in Loop: Header=BB13_4 Depth=1
	v_mul_lo_u32 v22, s59, v8
	v_mul_lo_u32 v23, s60, v9
	v_mad_u64_u32 v[20:21], s[50:51], s60, v8, 0
	v_add3_u32 v21, v21, v23, v22
	v_mul_lo_u32 v27, v13, s24
	v_mul_lo_u32 v28, v12, s25
	v_mad_u64_u32 v[22:23], s[50:51], v12, s24, 0
	v_add3_u32 v23, v23, v28, v27
	v_lshl_add_u64 v[20:21], v[20:21], 2, s[6:7]
	v_lshl_add_u64 v[20:21], v[22:23], 2, v[20:21]
	;; [unrolled: 1-line block ×3, first 2 shown]
	global_load_dword v18, v[18:19], off
	s_waitcnt vmcnt(0)
	v_add_f32_e32 v26, v26, v18
.LBB13_35:                              ;   in Loop: Header=BB13_4 Depth=1
	s_or_b64 exec, exec, s[0:1]
.LBB13_36:                              ;   in Loop: Header=BB13_4 Depth=1
	s_or_b64 exec, exec, s[48:49]
	v_lshl_add_u64 v[22:23], v[14:15], 0, s[22:23]
	v_mul_lo_u32 v27, v23, s55
	v_mul_lo_u32 v23, v22, s56
                                        ; implicit-def: $vgpr18_vgpr19
	s_and_saveexec_b64 s[0:1], s[46:47]
	s_xor_b64 s[0:1], exec, s[0:1]
	s_cbranch_execnz .LBB13_39
; %bb.37:                               ;   in Loop: Header=BB13_4 Depth=1
	s_or_saveexec_b64 s[46:47], s[0:1]
	v_lshl_add_u64 v[20:21], s[20:21], 0, v[4:5]
	s_xor_b64 exec, exec, s[46:47]
	s_cbranch_execnz .LBB13_40
.LBB13_38:                              ;   in Loop: Header=BB13_4 Depth=1
	s_or_b64 exec, exec, s[46:47]
	s_and_saveexec_b64 s[46:47], s[2:3]
	s_cbranch_execz .LBB13_3
	s_branch .LBB13_43
.LBB13_39:                              ;   in Loop: Header=BB13_4 Depth=1
	v_mad_u64_u32 v[18:19], s[46:47], v22, s55, 0
	v_add3_u32 v19, v19, v23, v27
                                        ; implicit-def: $vgpr22_vgpr23
                                        ; implicit-def: $vgpr23
                                        ; implicit-def: $vgpr27
                                        ; implicit-def: $vgpr16_vgpr17
	s_or_saveexec_b64 s[46:47], s[0:1]
	v_lshl_add_u64 v[20:21], s[20:21], 0, v[4:5]
	s_xor_b64 exec, exec, s[46:47]
	s_cbranch_execz .LBB13_38
.LBB13_40:                              ;   in Loop: Header=BB13_4 Depth=1
	v_mad_u64_u32 v[18:19], s[0:1], v22, s55, 0
	v_add3_u32 v19, v19, v23, v27
	v_sub_co_u32_e32 v16, vcc, v18, v16
	s_nop 1
	v_subb_co_u32_e32 v17, vcc, v19, v17, vcc
	v_lshl_add_u64 v[16:17], v[20:21], 0, v[16:17]
	v_cmp_lt_i64_e32 vcc, -1, v[16:17]
	v_cmp_gt_i64_e64 s[0:1], s[24:25], v[16:17]
	s_and_b64 s[48:49], vcc, s[0:1]
	s_and_saveexec_b64 s[0:1], s[48:49]
	s_cbranch_execz .LBB13_42
; %bb.41:                               ;   in Loop: Header=BB13_4 Depth=1
	v_mul_lo_u32 v27, s59, v8
	v_mul_lo_u32 v28, s60, v9
	v_mad_u64_u32 v[22:23], s[48:49], s60, v8, 0
	v_add3_u32 v23, v23, v28, v27
	v_mul_lo_u32 v27, v13, s24
	v_mul_lo_u32 v30, v12, s25
	v_mad_u64_u32 v[28:29], s[48:49], v12, s24, 0
	v_add3_u32 v29, v29, v30, v27
	v_lshl_add_u64 v[22:23], v[22:23], 2, s[6:7]
	v_lshl_add_u64 v[22:23], v[28:29], 2, v[22:23]
	;; [unrolled: 1-line block ×3, first 2 shown]
	global_load_dword v16, v[16:17], off
	s_waitcnt vmcnt(0)
	v_add_f32_e32 v26, v26, v16
.LBB13_42:                              ;   in Loop: Header=BB13_4 Depth=1
	s_or_b64 exec, exec, s[0:1]
	s_or_b64 exec, exec, s[46:47]
	s_and_saveexec_b64 s[46:47], s[2:3]
	s_cbranch_execz .LBB13_3
.LBB13_43:                              ;   in Loop: Header=BB13_4 Depth=1
	v_mad_u64_u32 v[14:15], s[0:1], s10, v10, v[14:15]
	v_mul_lo_u32 v11, s10, v11
	v_mul_lo_u32 v10, s11, v10
	v_add3_u32 v15, v10, v15, v11
	v_lshl_add_u64 v[10:11], v[14:15], 0, 2
	v_mul_lo_u32 v14, s8, v11
	v_mul_lo_u32 v15, s9, v10
	v_mad_u64_u32 v[10:11], s[0:1], s8, v10, v[18:19]
	v_add3_u32 v11, v15, v11, v14
	v_lshl_add_u64 v[10:11], v[20:21], 0, v[10:11]
	v_lshl_add_u64 v[10:11], v[10:11], 0, -2
	v_cmp_lt_i64_e32 vcc, -1, v[10:11]
	v_cmp_gt_i64_e64 s[0:1], s[24:25], v[10:11]
	s_and_b64 s[2:3], vcc, s[0:1]
	s_and_saveexec_b64 s[0:1], s[2:3]
	s_cbranch_execz .LBB13_2
; %bb.44:                               ;   in Loop: Header=BB13_4 Depth=1
	v_mul_lo_u32 v16, s59, v8
	v_mul_lo_u32 v17, s60, v9
	v_mad_u64_u32 v[14:15], s[2:3], s60, v8, 0
	v_add3_u32 v15, v15, v17, v16
	v_mul_lo_u32 v20, v13, s24
	v_mul_lo_u32 v21, v12, s25
	v_mad_u64_u32 v[16:17], s[2:3], v12, s24, 0
	v_add3_u32 v17, v17, v21, v20
	v_lshl_add_u64 v[14:15], v[14:15], 2, s[6:7]
	v_lshl_add_u64 v[14:15], v[16:17], 2, v[14:15]
	;; [unrolled: 1-line block ×3, first 2 shown]
	global_load_dword v10, v[10:11], off
	s_waitcnt vmcnt(0)
	v_add_f32_e32 v26, v26, v10
	s_branch .LBB13_2
.LBB13_45:                              ;   in Loop: Header=BB13_4 Depth=1
	s_mov_b64 s[0:1], 0
                                        ; implicit-def: $vgpr20_vgpr21
	s_and_saveexec_b64 s[52:53], s[2:3]
	s_xor_b64 s[52:53], exec, s[52:53]
	s_cbranch_execz .LBB13_47
; %bb.46:                               ;   in Loop: Header=BB13_4 Depth=1
	v_mad_u64_u32 v[30:31], s[0:1], s10, v10, v[14:15]
	v_mul_lo_u32 v29, s10, v11
	v_mul_lo_u32 v32, s11, v10
	v_mov_b32_e32 v21, s62
	v_sub_co_u32_e32 v20, vcc, s61, v27
	v_add3_u32 v31, v32, v31, v29
	s_nop 0
	v_subb_co_u32_e32 v21, vcc, v21, v28, vcc
	v_lshl_add_u64 v[30:31], v[30:31], 0, 2
	v_lshl_add_u64 v[20:21], v[20:21], 0, v[22:23]
	v_mul_lo_u32 v29, s8, v31
	v_mul_lo_u32 v31, s9, v30
	v_mad_u64_u32 v[22:23], s[0:1], s8, v30, v[22:23]
	v_add3_u32 v23, v31, v23, v29
	v_lshl_add_u64 v[30:31], s[20:21], 0, v[4:5]
	v_lshl_add_u64 v[22:23], v[30:31], 0, v[22:23]
	v_lshl_add_u64 v[22:23], v[22:23], 0, -2
	v_cmp_lt_i64_e32 vcc, -1, v[22:23]
	v_cmp_gt_i64_e64 s[0:1], s[24:25], v[22:23]
	s_and_b64 s[0:1], vcc, s[0:1]
	s_and_b64 s[0:1], s[0:1], exec
.LBB13_47:                              ;   in Loop: Header=BB13_4 Depth=1
	s_or_b64 exec, exec, s[52:53]
	s_and_b64 s[52:53], s[0:1], exec
                                        ; implicit-def: $vgpr22_vgpr23
	s_andn2_saveexec_b64 s[50:51], s[50:51]
	s_cbranch_execz .LBB13_25
.LBB13_48:                              ;   in Loop: Header=BB13_4 Depth=1
	v_sub_co_u32_e32 v20, vcc, v22, v16
	s_andn2_b64 s[52:53], s[52:53], exec
	s_nop 0
	v_subb_co_u32_e32 v21, vcc, v23, v17, vcc
	v_lshl_add_u64 v[22:23], s[20:21], 0, v[4:5]
	v_lshl_add_u64 v[20:21], v[22:23], 0, v[20:21]
	v_cmp_lt_i64_e32 vcc, -1, v[20:21]
	v_cmp_gt_i64_e64 s[0:1], s[24:25], v[20:21]
	s_and_b64 s[0:1], vcc, s[0:1]
	s_and_b64 s[0:1], s[0:1], exec
	s_or_b64 s[52:53], s[52:53], s[0:1]
	s_or_b64 exec, exec, s[50:51]
	s_and_saveexec_b64 s[0:1], s[52:53]
	s_cbranch_execnz .LBB13_26
	s_branch .LBB13_27
.LBB13_49:                              ;   in Loop: Header=BB13_4 Depth=1
	s_mov_b64 s[0:1], 0
                                        ; implicit-def: $vgpr18_vgpr19
	s_and_saveexec_b64 s[52:53], s[2:3]
	s_xor_b64 s[52:53], exec, s[52:53]
	s_cbranch_execz .LBB13_51
; %bb.50:                               ;   in Loop: Header=BB13_4 Depth=1
	v_lshl_add_u64 v[18:19], s[12:13], 0, v[20:21]
	v_sub_co_u32_e32 v18, vcc, v18, v27
	v_mad_u64_u32 v[22:23], s[0:1], s10, v10, v[14:15]
	s_nop 0
	v_subb_co_u32_e32 v19, vcc, v19, v28, vcc
	v_mul_lo_u32 v27, s10, v11
	v_mul_lo_u32 v28, s11, v10
	v_add3_u32 v23, v28, v23, v27
	v_lshl_add_u64 v[22:23], v[22:23], 0, 2
	v_mul_lo_u32 v23, s8, v23
	v_mul_lo_u32 v27, s9, v22
	v_mad_u64_u32 v[20:21], s[0:1], s8, v22, v[20:21]
	v_add3_u32 v21, v27, v21, v23
	v_lshl_add_u64 v[22:23], s[20:21], 0, v[4:5]
	v_lshl_add_u64 v[20:21], v[22:23], 0, v[20:21]
	v_lshl_add_u64 v[20:21], v[20:21], 0, -2
	v_cmp_lt_i64_e32 vcc, -1, v[20:21]
	v_cmp_gt_i64_e64 s[0:1], s[24:25], v[20:21]
	s_and_b64 s[0:1], vcc, s[0:1]
	s_and_b64 s[0:1], s[0:1], exec
.LBB13_51:                              ;   in Loop: Header=BB13_4 Depth=1
	s_or_b64 exec, exec, s[52:53]
	s_and_b64 s[52:53], s[0:1], exec
                                        ; implicit-def: $vgpr20_vgpr21
	s_andn2_saveexec_b64 s[50:51], s[50:51]
	s_cbranch_execz .LBB13_33
.LBB13_52:                              ;   in Loop: Header=BB13_4 Depth=1
	v_sub_co_u32_e32 v18, vcc, v20, v16
	s_andn2_b64 s[52:53], s[52:53], exec
	s_nop 0
	v_subb_co_u32_e32 v19, vcc, v21, v17, vcc
	v_lshl_add_u64 v[20:21], s[20:21], 0, v[4:5]
	v_lshl_add_u64 v[18:19], v[20:21], 0, v[18:19]
	v_cmp_lt_i64_e32 vcc, -1, v[18:19]
	v_cmp_gt_i64_e64 s[0:1], s[24:25], v[18:19]
	s_and_b64 s[0:1], vcc, s[0:1]
	s_and_b64 s[0:1], s[0:1], exec
	s_or_b64 s[52:53], s[52:53], s[0:1]
	s_or_b64 exec, exec, s[50:51]
	s_and_saveexec_b64 s[0:1], s[52:53]
	s_cbranch_execnz .LBB13_34
	s_branch .LBB13_35
.LBB13_53:
	s_endpgm
	.section	.rodata,"a",@progbits
	.p2align	6, 0x0
	.amdhsa_kernel _ZN2at6native12_GLOBAL__N_140reflection_pad2d_backward_det_out_kernelIfEEvPT_PKS3_lliiiiiii
		.amdhsa_group_segment_fixed_size 0
		.amdhsa_private_segment_fixed_size 0
		.amdhsa_kernarg_size 320
		.amdhsa_user_sgpr_count 2
		.amdhsa_user_sgpr_dispatch_ptr 0
		.amdhsa_user_sgpr_queue_ptr 0
		.amdhsa_user_sgpr_kernarg_segment_ptr 1
		.amdhsa_user_sgpr_dispatch_id 0
		.amdhsa_user_sgpr_kernarg_preload_length 0
		.amdhsa_user_sgpr_kernarg_preload_offset 0
		.amdhsa_user_sgpr_private_segment_size 0
		.amdhsa_uses_dynamic_stack 0
		.amdhsa_enable_private_segment 0
		.amdhsa_system_sgpr_workgroup_id_x 1
		.amdhsa_system_sgpr_workgroup_id_y 0
		.amdhsa_system_sgpr_workgroup_id_z 0
		.amdhsa_system_sgpr_workgroup_info 0
		.amdhsa_system_vgpr_workitem_id 0
		.amdhsa_next_free_vgpr 36
		.amdhsa_next_free_sgpr 72
		.amdhsa_accum_offset 36
		.amdhsa_reserve_vcc 1
		.amdhsa_float_round_mode_32 0
		.amdhsa_float_round_mode_16_64 0
		.amdhsa_float_denorm_mode_32 3
		.amdhsa_float_denorm_mode_16_64 3
		.amdhsa_dx10_clamp 1
		.amdhsa_ieee_mode 1
		.amdhsa_fp16_overflow 0
		.amdhsa_tg_split 0
		.amdhsa_exception_fp_ieee_invalid_op 0
		.amdhsa_exception_fp_denorm_src 0
		.amdhsa_exception_fp_ieee_div_zero 0
		.amdhsa_exception_fp_ieee_overflow 0
		.amdhsa_exception_fp_ieee_underflow 0
		.amdhsa_exception_fp_ieee_inexact 0
		.amdhsa_exception_int_div_zero 0
	.end_amdhsa_kernel
	.section	.text._ZN2at6native12_GLOBAL__N_140reflection_pad2d_backward_det_out_kernelIfEEvPT_PKS3_lliiiiiii,"axG",@progbits,_ZN2at6native12_GLOBAL__N_140reflection_pad2d_backward_det_out_kernelIfEEvPT_PKS3_lliiiiiii,comdat
.Lfunc_end13:
	.size	_ZN2at6native12_GLOBAL__N_140reflection_pad2d_backward_det_out_kernelIfEEvPT_PKS3_lliiiiiii, .Lfunc_end13-_ZN2at6native12_GLOBAL__N_140reflection_pad2d_backward_det_out_kernelIfEEvPT_PKS3_lliiiiiii
                                        ; -- End function
	.set _ZN2at6native12_GLOBAL__N_140reflection_pad2d_backward_det_out_kernelIfEEvPT_PKS3_lliiiiiii.num_vgpr, 36
	.set _ZN2at6native12_GLOBAL__N_140reflection_pad2d_backward_det_out_kernelIfEEvPT_PKS3_lliiiiiii.num_agpr, 0
	.set _ZN2at6native12_GLOBAL__N_140reflection_pad2d_backward_det_out_kernelIfEEvPT_PKS3_lliiiiiii.numbered_sgpr, 72
	.set _ZN2at6native12_GLOBAL__N_140reflection_pad2d_backward_det_out_kernelIfEEvPT_PKS3_lliiiiiii.num_named_barrier, 0
	.set _ZN2at6native12_GLOBAL__N_140reflection_pad2d_backward_det_out_kernelIfEEvPT_PKS3_lliiiiiii.private_seg_size, 0
	.set _ZN2at6native12_GLOBAL__N_140reflection_pad2d_backward_det_out_kernelIfEEvPT_PKS3_lliiiiiii.uses_vcc, 1
	.set _ZN2at6native12_GLOBAL__N_140reflection_pad2d_backward_det_out_kernelIfEEvPT_PKS3_lliiiiiii.uses_flat_scratch, 0
	.set _ZN2at6native12_GLOBAL__N_140reflection_pad2d_backward_det_out_kernelIfEEvPT_PKS3_lliiiiiii.has_dyn_sized_stack, 0
	.set _ZN2at6native12_GLOBAL__N_140reflection_pad2d_backward_det_out_kernelIfEEvPT_PKS3_lliiiiiii.has_recursion, 0
	.set _ZN2at6native12_GLOBAL__N_140reflection_pad2d_backward_det_out_kernelIfEEvPT_PKS3_lliiiiiii.has_indirect_call, 0
	.section	.AMDGPU.csdata,"",@progbits
; Kernel info:
; codeLenInByte = 5856
; TotalNumSgprs: 78
; NumVgprs: 36
; NumAgprs: 0
; TotalNumVgprs: 36
; ScratchSize: 0
; MemoryBound: 0
; FloatMode: 240
; IeeeMode: 1
; LDSByteSize: 0 bytes/workgroup (compile time only)
; SGPRBlocks: 9
; VGPRBlocks: 4
; NumSGPRsForWavesPerEU: 78
; NumVGPRsForWavesPerEU: 36
; AccumOffset: 36
; Occupancy: 8
; WaveLimiterHint : 0
; COMPUTE_PGM_RSRC2:SCRATCH_EN: 0
; COMPUTE_PGM_RSRC2:USER_SGPR: 2
; COMPUTE_PGM_RSRC2:TRAP_HANDLER: 0
; COMPUTE_PGM_RSRC2:TGID_X_EN: 1
; COMPUTE_PGM_RSRC2:TGID_Y_EN: 0
; COMPUTE_PGM_RSRC2:TGID_Z_EN: 0
; COMPUTE_PGM_RSRC2:TIDIG_COMP_CNT: 0
; COMPUTE_PGM_RSRC3_GFX90A:ACCUM_OFFSET: 8
; COMPUTE_PGM_RSRC3_GFX90A:TG_SPLIT: 0
	.section	.text._ZN2at6native12_GLOBAL__N_136reflection_pad2d_backward_out_kernelIfEEvPT_PKS3_lliiiiiii,"axG",@progbits,_ZN2at6native12_GLOBAL__N_136reflection_pad2d_backward_out_kernelIfEEvPT_PKS3_lliiiiiii,comdat
	.globl	_ZN2at6native12_GLOBAL__N_136reflection_pad2d_backward_out_kernelIfEEvPT_PKS3_lliiiiiii ; -- Begin function _ZN2at6native12_GLOBAL__N_136reflection_pad2d_backward_out_kernelIfEEvPT_PKS3_lliiiiiii
	.p2align	8
	.type	_ZN2at6native12_GLOBAL__N_136reflection_pad2d_backward_out_kernelIfEEvPT_PKS3_lliiiiiii,@function
_ZN2at6native12_GLOBAL__N_136reflection_pad2d_backward_out_kernelIfEEvPT_PKS3_lliiiiiii: ; @_ZN2at6native12_GLOBAL__N_136reflection_pad2d_backward_out_kernelIfEEvPT_PKS3_lliiiiiii
; %bb.0:
	s_load_dword s5, s[0:1], 0x4c
	s_load_dwordx4 s[16:19], s[0:1], 0x20
	s_load_dwordx8 s[8:15], s[0:1], 0x0
	v_mov_b32_e32 v1, 0
	s_waitcnt lgkmcnt(0)
	s_and_b32 s5, s5, 0xffff
	s_ashr_i32 s7, s18, 31
	s_mul_i32 s2, s2, s5
	s_add_u32 s5, s12, s18
	v_add_u32_e32 v0, s2, v0
	s_addc_u32 s30, s13, s7
	s_ashr_i32 s2, s19, 31
	s_add_u32 s34, s5, s19
	s_addc_u32 s23, s30, s2
	s_ashr_i32 s21, s16, 31
	s_add_u32 s31, s14, s16
	;; [unrolled: 3-line block ×3, first 2 shown]
	s_addc_u32 s36, s33, s2
	s_mov_b32 s20, s16
	s_mul_i32 s2, s34, s36
	s_mul_hi_u32 s16, s34, s35
	s_add_i32 s2, s16, s2
	s_mul_i32 s16, s23, s35
	s_add_i32 s17, s2, s16
	s_mul_i32 s16, s34, s35
	v_cmp_gt_i64_e32 vcc, s[16:17], v[0:1]
	s_and_saveexec_b64 s[16:17], vcc
	s_cbranch_execz .LBB14_5
; %bb.1:
	s_mov_b32 s6, s18
	s_load_dwordx4 s[16:19], s[0:1], 0x30
	s_mov_b32 s22, 0
	s_cmp_lg_u64 s[22:23], 0
	s_cbranch_scc0 .LBB14_6
; %bb.2:
	s_ashr_i32 s24, s23, 31
	s_add_u32 s0, s34, s24
	s_mov_b32 s25, s24
	s_addc_u32 s1, s23, s24
	s_xor_b64 s[28:29], s[0:1], s[24:25]
	v_cvt_f32_u32_e32 v2, s28
	v_cvt_f32_u32_e32 v3, s29
	s_sub_u32 s2, 0, s28
	s_waitcnt lgkmcnt(0)
	s_subb_u32 s19, 0, s29
	v_lshl_add_u64 v[4:5], v[0:1], 0, 0
	v_fmamk_f32 v2, v3, 0x4f800000, v2
	v_rcp_f32_e32 v2, v2
	s_nop 0
	v_mul_f32_e32 v2, 0x5f7ffffc, v2
	v_mul_f32_e32 v3, 0x2f800000, v2
	v_trunc_f32_e32 v3, v3
	v_fmamk_f32 v2, v3, 0xcf800000, v2
	v_cvt_u32_f32_e32 v3, v3
	v_cvt_u32_f32_e32 v2, v2
	v_readfirstlane_b32 s22, v3
	v_readfirstlane_b32 s0, v2
	s_mul_i32 s1, s2, s22
	s_mul_hi_u32 s37, s2, s0
	s_mul_i32 s25, s19, s0
	s_add_i32 s1, s37, s1
	s_add_i32 s1, s1, s25
	s_mul_i32 s38, s2, s0
	s_mul_i32 s37, s0, s1
	s_mul_hi_u32 s39, s0, s38
	s_mul_hi_u32 s25, s0, s1
	s_add_u32 s37, s39, s37
	s_addc_u32 s25, 0, s25
	s_mul_hi_u32 s40, s22, s38
	s_mul_i32 s38, s22, s38
	s_add_u32 s37, s37, s38
	s_mul_hi_u32 s39, s22, s1
	s_addc_u32 s25, s25, s40
	s_addc_u32 s37, s39, 0
	s_mul_i32 s1, s22, s1
	s_add_u32 s1, s25, s1
	s_addc_u32 s25, 0, s37
	s_add_u32 s37, s0, s1
	s_cselect_b64 s[0:1], -1, 0
	s_cmp_lg_u64 s[0:1], 0
	s_addc_u32 s22, s22, s25
	s_mul_i32 s0, s2, s22
	s_mul_hi_u32 s1, s2, s37
	s_add_i32 s0, s1, s0
	s_mul_i32 s19, s19, s37
	s_add_i32 s0, s0, s19
	s_mul_i32 s2, s2, s37
	s_mul_hi_u32 s19, s22, s2
	s_mul_i32 s25, s22, s2
	s_mul_i32 s39, s37, s0
	s_mul_hi_u32 s2, s37, s2
	s_mul_hi_u32 s38, s37, s0
	s_add_u32 s2, s2, s39
	s_addc_u32 s38, 0, s38
	s_add_u32 s2, s2, s25
	s_mul_hi_u32 s1, s22, s0
	s_addc_u32 s2, s38, s19
	s_addc_u32 s1, s1, 0
	s_mul_i32 s0, s22, s0
	s_add_u32 s0, s2, s0
	s_addc_u32 s2, 0, s1
	s_add_u32 s19, s37, s0
	s_cselect_b64 s[0:1], -1, 0
	s_cmp_lg_u64 s[0:1], 0
	s_addc_u32 s2, s22, s2
	v_mov_b32_e32 v3, 0
	v_mad_u64_u32 v[6:7], s[0:1], v4, s2, 0
	v_mul_hi_u32 v2, v4, s19
	v_lshl_add_u64 v[6:7], v[2:3], 0, v[6:7]
	v_mad_u64_u32 v[10:11], s[0:1], v5, s19, 0
	v_add_co_u32_e32 v1, vcc, v6, v10
	v_mad_u64_u32 v[8:9], s[0:1], v5, s2, 0
	s_nop 0
	v_addc_co_u32_e32 v2, vcc, v7, v11, vcc
	s_nop 1
	v_addc_co_u32_e32 v9, vcc, 0, v9, vcc
	v_lshl_add_u64 v[2:3], v[2:3], 0, v[8:9]
	v_mul_lo_u32 v1, s29, v2
	v_mul_lo_u32 v8, s28, v3
	v_mad_u64_u32 v[6:7], s[0:1], s28, v2, 0
	v_add3_u32 v1, v7, v8, v1
	v_sub_u32_e32 v7, v5, v1
	v_mov_b32_e32 v8, s29
	v_sub_co_u32_e32 v4, vcc, v4, v6
	s_nop 1
	v_subb_co_u32_e64 v6, s[0:1], v7, v8, vcc
	v_subrev_co_u32_e64 v7, s[0:1], s28, v4
	v_subb_co_u32_e32 v1, vcc, v5, v1, vcc
	s_nop 0
	v_subbrev_co_u32_e64 v6, s[0:1], 0, v6, s[0:1]
	v_cmp_le_u32_e64 s[0:1], s29, v6
	v_cmp_le_u32_e32 vcc, s29, v1
	s_nop 0
	v_cndmask_b32_e64 v8, 0, -1, s[0:1]
	v_cmp_le_u32_e64 s[0:1], s28, v7
	v_cndmask_b32_e64 v5, 0, -1, vcc
	v_cmp_le_u32_e32 vcc, s28, v4
	v_cndmask_b32_e64 v7, 0, -1, s[0:1]
	v_cmp_eq_u32_e64 s[0:1], s29, v6
	v_cndmask_b32_e64 v4, 0, -1, vcc
	v_cmp_eq_u32_e32 vcc, s29, v1
	v_cndmask_b32_e64 v10, v8, v7, s[0:1]
	v_lshl_add_u64 v[6:7], v[2:3], 0, 2
	v_lshl_add_u64 v[8:9], v[2:3], 0, 1
	v_cmp_ne_u32_e64 s[0:1], 0, v10
	v_cndmask_b32_e32 v1, v5, v4, vcc
	v_cmp_ne_u32_e32 vcc, 0, v1
	v_cndmask_b32_e64 v7, v9, v7, s[0:1]
	s_nop 0
	v_cndmask_b32_e32 v1, v3, v7, vcc
	v_cndmask_b32_e64 v3, v8, v6, s[0:1]
	v_cndmask_b32_e32 v2, v2, v3, vcc
	v_xor_b32_e32 v2, s24, v2
	v_xor_b32_e32 v1, s24, v1
	v_mov_b32_e32 v3, s24
	v_subrev_co_u32_e32 v2, vcc, s24, v2
	s_nop 1
	v_subb_co_u32_e32 v3, vcc, v1, v3, vcc
	s_cbranch_execnz .LBB14_4
.LBB14_3:
	v_cvt_f32_u32_e32 v1, s34
	s_sub_i32 s0, 0, s34
	v_rcp_iflag_f32_e32 v1, v1
	s_nop 0
	v_mul_f32_e32 v1, 0x4f7ffffe, v1
	v_cvt_u32_f32_e32 v1, v1
	v_mul_lo_u32 v2, s0, v1
	v_mul_hi_u32 v2, v1, v2
	v_add_u32_e32 v1, v1, v2
	v_mul_hi_u32 v1, v0, v1
	v_mul_lo_u32 v2, v1, s34
	v_sub_u32_e32 v2, v0, v2
	v_add_u32_e32 v3, 1, v1
	v_subrev_u32_e32 v4, s34, v2
	v_cmp_le_u32_e32 vcc, s34, v2
	s_nop 1
	v_cndmask_b32_e32 v2, v2, v4, vcc
	v_cndmask_b32_e32 v1, v1, v3, vcc
	v_add_u32_e32 v3, 1, v1
	v_cmp_le_u32_e32 vcc, s34, v2
	s_nop 1
	v_cndmask_b32_e32 v2, v1, v3, vcc
	v_mov_b32_e32 v3, 0
.LBB14_4:
	s_sub_u32 s0, 0, s20
	s_subb_u32 s1, 0, s21
	s_sub_u32 s24, 0, s6
	s_subb_u32 s25, 0, s7
	s_waitcnt lgkmcnt(0)
	s_add_i32 s2, s16, s3
	s_add_i32 s3, s17, s4
	s_mul_i32 s3, s3, s18
	s_add_i32 s4, s2, s3
	s_mul_i32 s2, s15, s4
	s_mul_hi_u32 s3, s14, s4
	s_add_i32 s15, s3, s2
	v_mul_lo_u32 v1, v3, s34
	v_mul_lo_u32 v10, v2, s23
	v_mad_u64_u32 v[8:9], s[2:3], v2, s34, 0
	v_add3_u32 v1, v9, v10, v1
	v_sub_co_u32_e32 v0, vcc, v0, v8
	v_mov_b32_e32 v8, s7
	s_nop 0
	v_subb_co_u32_e32 v1, vcc, 0, v1, vcc
	v_subrev_co_u32_e32 v9, vcc, s6, v0
	v_mov_b32_e32 v4, s8
	s_nop 0
	v_subb_co_u32_e32 v8, vcc, v1, v8, vcc
	v_ashrrev_i32_e32 v10, 31, v8
	v_xor_b32_e32 v11, v8, v10
	v_mov_b32_e32 v8, s4
	v_mov_b32_e32 v5, s9
	v_xor_b32_e32 v12, v9, v10
	s_mul_i32 s36, s36, s4
	v_mad_u64_u32 v[8:9], s[8:9], s35, v8, v[2:3]
	v_add_u32_e32 v9, s36, v9
	v_mul_lo_u32 v13, v9, s34
	v_mul_lo_u32 v14, v8, s23
	v_mad_u64_u32 v[8:9], s[8:9], v8, s34, 0
	v_mov_b32_e32 v6, s10
	v_mov_b32_e32 v7, s11
	v_add3_u32 v9, v9, v14, v13
	v_lshl_add_u64 v[6:7], v[8:9], 2, v[6:7]
	v_lshl_add_u64 v[6:7], v[0:1], 2, v[6:7]
	global_load_dword v14, v[6:7], off
	v_sub_co_u32_e32 v6, vcc, v12, v10
	v_mov_b32_e32 v9, s30
	s_nop 0
	v_subb_co_u32_e32 v7, vcc, v11, v10, vcc
	v_subrev_co_u32_e32 v8, vcc, s5, v0
	v_cmp_gt_i64_e64 s[2:3], s[24:25], 0
	s_nop 0
	v_subb_co_u32_e32 v9, vcc, v1, v9, vcc
	v_lshl_add_u64 v[8:9], v[8:9], 0, 1
	v_ashrrev_i32_e32 v10, 31, v9
	v_xor_b32_e32 v8, v8, v10
	s_and_b64 s[2:3], s[2:3], exec
	v_xor_b32_e32 v9, v9, v10
	v_sub_co_u32_e32 v8, vcc, v8, v10
	v_cmp_gt_i64_e64 s[2:3], s[0:1], 0
	s_nop 0
	v_subb_co_u32_e32 v9, vcc, v9, v10, vcc
	s_cselect_b32 s10, s25, 0
	s_cselect_b32 s11, s24, 0
	s_and_b64 s[2:3], s[2:3], exec
	v_mov_b32_e32 v10, s21
	v_subrev_co_u32_e32 v11, vcc, s20, v2
	s_cselect_b32 s16, s1, 0
	s_cselect_b32 s17, s0, 0
	v_cmp_gt_i64_e64 s[0:1], s[6:7], 0
	v_subb_co_u32_e32 v10, vcc, v3, v10, vcc
	s_and_b64 s[0:1], s[0:1], exec
	v_cmp_gt_i64_e64 s[2:3], s[20:21], 0
	v_ashrrev_i32_e32 v12, 31, v10
	s_cselect_b32 s1, s7, 0
	s_cselect_b32 s0, s6, 0
	s_and_b64 s[2:3], s[2:3], exec
	v_xor_b32_e32 v13, v10, v12
	v_xor_b32_e32 v10, v11, v12
	s_cselect_b32 s3, s21, 0
	s_cselect_b32 s2, s20, 0
	v_sub_co_u32_e32 v10, vcc, v10, v12
	s_not_b64 s[2:3], s[2:3]
	s_nop 0
	v_subb_co_u32_e32 v11, vcc, v13, v12, vcc
	s_mul_i32 s14, s14, s4
	v_mov_b32_e32 v13, s33
	v_subrev_co_u32_e32 v12, vcc, s31, v2
	s_add_u32 s4, s31, s20
	s_nop 0
	v_subb_co_u32_e32 v13, vcc, v3, v13, vcc
	s_addc_u32 s8, s33, s21
	v_lshl_add_u64 v[12:13], v[12:13], 0, 1
	s_add_u32 s2, s4, s2
	v_ashrrev_i32_e32 v15, 31, v13
	s_addc_u32 s3, s8, s3
	v_xor_b32_e32 v12, v12, v15
	s_add_u32 s2, s2, s17
	v_xor_b32_e32 v13, v13, v15
	v_sub_co_u32_e32 v12, vcc, v12, v15
	s_addc_u32 s3, s3, s16
	s_nop 0
	v_subb_co_u32_e32 v13, vcc, v13, v15, vcc
	s_add_u32 s2, s2, s14
	s_addc_u32 s3, s3, s15
	v_lshl_add_u64 v[2:3], v[2:3], 0, v[12:13]
	v_mov_b32_e32 v12, s3
	v_sub_co_u32_e32 v2, vcc, s2, v2
	v_lshl_add_u64 v[0:1], v[0:1], 0, v[8:9]
	s_nop 0
	v_subb_co_u32_e32 v3, vcc, v12, v3, vcc
	v_lshl_add_u64 v[2:3], v[2:3], 0, v[10:11]
	v_mul_lo_u32 v10, v3, s12
	v_mul_lo_u32 v11, v2, s13
	v_mad_u64_u32 v[2:3], s[2:3], v2, s12, 0
	s_add_u32 s2, s5, s6
	s_addc_u32 s3, s30, s7
	s_not_b64 s[0:1], s[0:1]
	s_add_u32 s0, s2, s0
	s_addc_u32 s1, s3, s1
	s_add_u32 s0, s0, s11
	s_addc_u32 s1, s1, s10
	v_mov_b32_e32 v8, s1
	v_sub_co_u32_e32 v0, vcc, s0, v0
	v_add3_u32 v3, v3, v11, v10
	s_nop 0
	v_subb_co_u32_e32 v1, vcc, v8, v1, vcc
	v_lshl_add_u64 v[0:1], v[0:1], 2, v[4:5]
	v_lshl_add_u64 v[0:1], v[6:7], 2, v[0:1]
	;; [unrolled: 1-line block ×3, first 2 shown]
	s_waitcnt vmcnt(0)
	global_atomic_add_f32 v[0:1], v14, off
.LBB14_5:
	s_endpgm
.LBB14_6:
                                        ; implicit-def: $vgpr2_vgpr3
	s_branch .LBB14_3
	.section	.rodata,"a",@progbits
	.p2align	6, 0x0
	.amdhsa_kernel _ZN2at6native12_GLOBAL__N_136reflection_pad2d_backward_out_kernelIfEEvPT_PKS3_lliiiiiii
		.amdhsa_group_segment_fixed_size 0
		.amdhsa_private_segment_fixed_size 0
		.amdhsa_kernarg_size 320
		.amdhsa_user_sgpr_count 2
		.amdhsa_user_sgpr_dispatch_ptr 0
		.amdhsa_user_sgpr_queue_ptr 0
		.amdhsa_user_sgpr_kernarg_segment_ptr 1
		.amdhsa_user_sgpr_dispatch_id 0
		.amdhsa_user_sgpr_kernarg_preload_length 0
		.amdhsa_user_sgpr_kernarg_preload_offset 0
		.amdhsa_user_sgpr_private_segment_size 0
		.amdhsa_uses_dynamic_stack 0
		.amdhsa_enable_private_segment 0
		.amdhsa_system_sgpr_workgroup_id_x 1
		.amdhsa_system_sgpr_workgroup_id_y 1
		.amdhsa_system_sgpr_workgroup_id_z 1
		.amdhsa_system_sgpr_workgroup_info 0
		.amdhsa_system_vgpr_workitem_id 0
		.amdhsa_next_free_vgpr 16
		.amdhsa_next_free_sgpr 41
		.amdhsa_accum_offset 16
		.amdhsa_reserve_vcc 1
		.amdhsa_float_round_mode_32 0
		.amdhsa_float_round_mode_16_64 0
		.amdhsa_float_denorm_mode_32 3
		.amdhsa_float_denorm_mode_16_64 3
		.amdhsa_dx10_clamp 1
		.amdhsa_ieee_mode 1
		.amdhsa_fp16_overflow 0
		.amdhsa_tg_split 0
		.amdhsa_exception_fp_ieee_invalid_op 0
		.amdhsa_exception_fp_denorm_src 0
		.amdhsa_exception_fp_ieee_div_zero 0
		.amdhsa_exception_fp_ieee_overflow 0
		.amdhsa_exception_fp_ieee_underflow 0
		.amdhsa_exception_fp_ieee_inexact 0
		.amdhsa_exception_int_div_zero 0
	.end_amdhsa_kernel
	.section	.text._ZN2at6native12_GLOBAL__N_136reflection_pad2d_backward_out_kernelIfEEvPT_PKS3_lliiiiiii,"axG",@progbits,_ZN2at6native12_GLOBAL__N_136reflection_pad2d_backward_out_kernelIfEEvPT_PKS3_lliiiiiii,comdat
.Lfunc_end14:
	.size	_ZN2at6native12_GLOBAL__N_136reflection_pad2d_backward_out_kernelIfEEvPT_PKS3_lliiiiiii, .Lfunc_end14-_ZN2at6native12_GLOBAL__N_136reflection_pad2d_backward_out_kernelIfEEvPT_PKS3_lliiiiiii
                                        ; -- End function
	.set _ZN2at6native12_GLOBAL__N_136reflection_pad2d_backward_out_kernelIfEEvPT_PKS3_lliiiiiii.num_vgpr, 16
	.set _ZN2at6native12_GLOBAL__N_136reflection_pad2d_backward_out_kernelIfEEvPT_PKS3_lliiiiiii.num_agpr, 0
	.set _ZN2at6native12_GLOBAL__N_136reflection_pad2d_backward_out_kernelIfEEvPT_PKS3_lliiiiiii.numbered_sgpr, 41
	.set _ZN2at6native12_GLOBAL__N_136reflection_pad2d_backward_out_kernelIfEEvPT_PKS3_lliiiiiii.num_named_barrier, 0
	.set _ZN2at6native12_GLOBAL__N_136reflection_pad2d_backward_out_kernelIfEEvPT_PKS3_lliiiiiii.private_seg_size, 0
	.set _ZN2at6native12_GLOBAL__N_136reflection_pad2d_backward_out_kernelIfEEvPT_PKS3_lliiiiiii.uses_vcc, 1
	.set _ZN2at6native12_GLOBAL__N_136reflection_pad2d_backward_out_kernelIfEEvPT_PKS3_lliiiiiii.uses_flat_scratch, 0
	.set _ZN2at6native12_GLOBAL__N_136reflection_pad2d_backward_out_kernelIfEEvPT_PKS3_lliiiiiii.has_dyn_sized_stack, 0
	.set _ZN2at6native12_GLOBAL__N_136reflection_pad2d_backward_out_kernelIfEEvPT_PKS3_lliiiiiii.has_recursion, 0
	.set _ZN2at6native12_GLOBAL__N_136reflection_pad2d_backward_out_kernelIfEEvPT_PKS3_lliiiiiii.has_indirect_call, 0
	.section	.AMDGPU.csdata,"",@progbits
; Kernel info:
; codeLenInByte = 1528
; TotalNumSgprs: 47
; NumVgprs: 16
; NumAgprs: 0
; TotalNumVgprs: 16
; ScratchSize: 0
; MemoryBound: 0
; FloatMode: 240
; IeeeMode: 1
; LDSByteSize: 0 bytes/workgroup (compile time only)
; SGPRBlocks: 5
; VGPRBlocks: 1
; NumSGPRsForWavesPerEU: 47
; NumVGPRsForWavesPerEU: 16
; AccumOffset: 16
; Occupancy: 8
; WaveLimiterHint : 0
; COMPUTE_PGM_RSRC2:SCRATCH_EN: 0
; COMPUTE_PGM_RSRC2:USER_SGPR: 2
; COMPUTE_PGM_RSRC2:TRAP_HANDLER: 0
; COMPUTE_PGM_RSRC2:TGID_X_EN: 1
; COMPUTE_PGM_RSRC2:TGID_Y_EN: 1
; COMPUTE_PGM_RSRC2:TGID_Z_EN: 1
; COMPUTE_PGM_RSRC2:TIDIG_COMP_CNT: 0
; COMPUTE_PGM_RSRC3_GFX90A:ACCUM_OFFSET: 3
; COMPUTE_PGM_RSRC3_GFX90A:TG_SPLIT: 0
	.section	.text._ZN2at6native12_GLOBAL__N_140reflection_pad2d_backward_det_out_kernelIN3c107complexIdEEEEvPT_PKS6_lliiiiiii,"axG",@progbits,_ZN2at6native12_GLOBAL__N_140reflection_pad2d_backward_det_out_kernelIN3c107complexIdEEEEvPT_PKS6_lliiiiiii,comdat
	.globl	_ZN2at6native12_GLOBAL__N_140reflection_pad2d_backward_det_out_kernelIN3c107complexIdEEEEvPT_PKS6_lliiiiiii ; -- Begin function _ZN2at6native12_GLOBAL__N_140reflection_pad2d_backward_det_out_kernelIN3c107complexIdEEEEvPT_PKS6_lliiiiiii
	.p2align	8
	.type	_ZN2at6native12_GLOBAL__N_140reflection_pad2d_backward_det_out_kernelIN3c107complexIdEEEEvPT_PKS6_lliiiiiii,@function
_ZN2at6native12_GLOBAL__N_140reflection_pad2d_backward_det_out_kernelIN3c107complexIdEEEEvPT_PKS6_lliiiiiii: ; @_ZN2at6native12_GLOBAL__N_140reflection_pad2d_backward_det_out_kernelIN3c107complexIdEEEEvPT_PKS6_lliiiiiii
; %bb.0:
	s_load_dword s3, s[0:1], 0x4c
	s_load_dwordx2 s[12:13], s[0:1], 0x30
	s_load_dwordx8 s[4:11], s[0:1], 0x0
	s_add_u32 s20, s0, 64
	s_addc_u32 s21, s1, 0
	s_waitcnt lgkmcnt(0)
	s_and_b32 s3, s3, 0xffff
	s_mul_i32 s2, s2, s3
	s_mul_i32 s14, s10, s9
	s_mul_hi_u32 s15, s10, s8
	v_add_u32_e32 v0, s2, v0
	s_ashr_i32 s2, s12, 31
	s_add_i32 s33, s15, s14
	s_mul_i32 s14, s11, s8
	s_mul_i32 s54, s10, s8
	s_add_i32 s33, s33, s14
	s_mul_i32 s2, s54, s2
	s_mul_hi_u32 s15, s54, s12
	s_ashr_i32 s17, s13, 31
	s_mul_i32 s14, s33, s12
	s_add_i32 s2, s15, s2
	s_mul_i32 s12, s54, s12
	s_add_i32 s2, s2, s14
	s_mul_i32 s14, s12, s17
	s_mul_hi_u32 s15, s12, s13
	v_mov_b32_e32 v2, 0
	s_mul_i32 s2, s2, s13
	s_add_i32 s14, s15, s14
	v_mov_b32_e32 v1, v2
	s_add_i32 s19, s14, s2
	s_mul_i32 s18, s12, s13
	s_mov_b32 s16, s13
	v_cmp_gt_i64_e32 vcc, s[18:19], v[0:1]
	s_and_saveexec_b64 s[12:13], vcc
	s_cbranch_execz .LBB15_53
; %bb.1:
	s_load_dwordx4 s[12:15], s[0:1], 0x20
	s_load_dword s2, s[20:21], 0x0
	s_mul_i32 s58, s54, s16
	v_cvt_f32_u32_e32 v3, s58
	v_sub_co_u32_e32 v4, vcc, 0, v0
	s_waitcnt lgkmcnt(0)
	s_ashr_i32 s21, s14, 31
	s_add_u32 s30, s8, s14
	s_addc_u32 s31, s9, s21
	s_ashr_i32 s1, s15, 31
	s_add_u32 s55, s30, s15
	s_addc_u32 s56, s31, s1
	s_ashr_i32 s23, s12, 31
	s_mov_b32 s0, s15
	s_add_u32 s15, s10, s12
	s_addc_u32 s24, s11, s23
	s_ashr_i32 s35, s13, 31
	s_mov_b32 s34, s13
	s_add_u32 s13, s15, s13
	s_addc_u32 s15, s24, s35
	s_mul_i32 s15, s55, s15
	s_mul_hi_u32 s24, s55, s13
	s_add_i32 s15, s24, s15
	s_mul_i32 s24, s56, s13
	s_add_i32 s25, s15, s24
	s_add_u32 s28, s8, -1
	s_addc_u32 s29, s9, -1
	s_mul_i32 s24, s55, s13
	s_mul_hi_u32 s27, s3, s2
	s_mul_i32 s26, s3, s2
	s_add_u32 s13, s30, s28
	s_mul_i32 s2, s54, s17
	s_mul_hi_u32 s3, s54, s16
	s_addc_u32 s15, s31, s29
	s_add_i32 s2, s3, s2
	s_mul_i32 s3, s33, s16
	s_add_i32 s57, s2, s3
	s_add_u32 s30, s10, -1
	s_addc_u32 s31, s11, -1
	s_not_b64 s[2:3], s[34:35]
	s_add_u32 s34, s10, s2
	s_addc_u32 s35, s11, s3
	s_not_b64 s[0:1], s[0:1]
	s_add_u32 s36, s8, s0
	s_addc_u32 s37, s9, s1
	s_mul_i32 s0, s24, s17
	s_mul_hi_u32 s1, s24, s16
	s_add_i32 s0, s1, s0
	s_mul_i32 s1, s25, s16
	s_add_i32 s59, s0, s1
	s_add_u32 s61, s13, -1
	s_addc_u32 s62, s15, -1
	s_lshl_b64 s[0:1], s[30:31], 1
	s_add_u32 s63, s0, s12
	s_addc_u32 s64, s1, s23
	s_lshl_b64 s[0:1], s[28:29], 1
	v_rcp_iflag_f32_e32 v3, v3
	s_mov_b32 s22, s12
	s_add_u32 s12, s0, s14
	s_addc_u32 s13, s1, s21
	s_mov_b32 s20, s14
	s_sub_u32 s65, 0, s10
	v_subb_co_u32_e64 v5, s[0:1], 0, 0, vcc
	s_subb_u32 s66, 0, s11
	s_lshl_b64 s[38:39], s[16:17], 4
	s_lshl_b64 s[40:41], s[8:9], 4
	;; [unrolled: 1-line block ×3, first 2 shown]
	v_mul_f32_e32 v3, 0x4f7ffffe, v3
	s_add_u32 s42, s6, s0
	v_cvt_u32_f32_e32 v28, v3
	s_addc_u32 s43, s7, s1
	s_lshl_b64 s[44:45], s[26:27], 4
	v_lshlrev_b64 v[6:7], 4, v[0:1]
	s_sub_u32 s67, 0, s54
	s_mul_i32 s60, s24, s16
	s_mov_b64 s[14:15], 0
	v_or_b32_e32 v6, 8, v6
	s_subb_u32 s68, 0, s33
	s_branch .LBB15_4
.LBB15_2:                               ;   in Loop: Header=BB15_4 Depth=1
	s_or_b64 exec, exec, s[0:1]
.LBB15_3:                               ;   in Loop: Header=BB15_4 Depth=1
	s_or_b64 exec, exec, s[46:47]
	v_lshlrev_b64 v[10:11], 4, v[12:13]
	v_mul_lo_u32 v12, s38, v9
	v_mul_lo_u32 v13, s39, v8
	v_mad_u64_u32 v[8:9], s[0:1], s38, v8, v[10:11]
	v_add3_u32 v9, v13, v9, v12
	v_mul_lo_u32 v12, s41, v3
	v_mul_lo_u32 v13, s40, v29
	v_mad_u64_u32 v[10:11], s[0:1], s40, v3, 0
	v_add3_u32 v11, v11, v13, v12
	v_mul_lo_u32 v3, s24, v9
	v_mad_u64_u32 v[10:11], s[0:1], s24, v8, v[10:11]
	v_mul_lo_u32 v8, s25, v8
	v_add3_u32 v11, v8, v11, v3
	v_lshl_add_u64 v[8:9], v[22:23], 4, v[10:11]
	v_lshl_add_u64 v[8:9], v[6:7], 0, v[8:9]
	;; [unrolled: 1-line block ×3, first 2 shown]
	global_load_dwordx4 v[8:11], v[8:9], off offset:-8
	v_lshl_add_u64 v[12:13], s[4:5], 0, v[6:7]
	global_load_dwordx4 v[18:21], v[12:13], off offset:-8
	v_mov_b32_e32 v3, s27
	v_subrev_co_u32_e32 v4, vcc, s26, v4
	v_lshl_add_u64 v[0:1], v[0:1], 0, s[26:27]
	s_nop 0
	v_subb_co_u32_e32 v5, vcc, v5, v3, vcc
	v_cmp_le_i64_e32 vcc, s[18:19], v[0:1]
	s_or_b64 s[14:15], vcc, s[14:15]
	v_lshl_add_u64 v[6:7], v[6:7], 0, s[44:45]
	s_waitcnt vmcnt(1)
	v_add_f64 v[8:9], v[16:17], v[8:9]
	v_add_f64 v[10:11], v[14:15], v[10:11]
	s_waitcnt vmcnt(0)
	v_add_f64 v[8:9], v[8:9], v[18:19]
	v_add_f64 v[10:11], v[10:11], v[20:21]
	global_store_dwordx4 v[12:13], v[8:11], off offset:-8
	s_andn2_b64 exec, exec, s[14:15]
	s_cbranch_execz .LBB15_53
.LBB15_4:                               ; =>This Inner Loop Header: Depth=1
	v_or_b32_e32 v3, s57, v1
	v_cmp_ne_u64_e32 vcc, 0, v[2:3]
	v_ashrrev_i32_e32 v12, 31, v1
                                        ; implicit-def: $vgpr8_vgpr9
	s_and_saveexec_b64 s[0:1], vcc
	s_xor_b64 s[2:3], exec, s[0:1]
	s_cbranch_execz .LBB15_6
; %bb.5:                                ;   in Loop: Header=BB15_4 Depth=1
	s_ashr_i32 s46, s57, 31
	s_add_u32 s0, s58, s46
	s_mov_b32 s47, s46
	s_addc_u32 s1, s57, s46
	s_xor_b64 s[48:49], s[0:1], s[46:47]
	v_cvt_f32_u32_e32 v3, s48
	v_cvt_f32_u32_e32 v8, s49
	s_sub_u32 s47, 0, s48
	s_subb_u32 s50, 0, s49
	v_mov_b32_e32 v13, v12
	v_fmac_f32_e32 v3, 0x4f800000, v8
	v_rcp_f32_e32 v3, v3
	v_mov_b32_e32 v11, v2
	v_mul_f32_e32 v3, 0x5f7ffffc, v3
	v_mul_f32_e32 v8, 0x2f800000, v3
	v_trunc_f32_e32 v8, v8
	v_fmac_f32_e32 v3, 0xcf800000, v8
	v_cvt_u32_f32_e32 v8, v8
	v_cvt_u32_f32_e32 v3, v3
	v_readfirstlane_b32 s51, v8
	v_readfirstlane_b32 s0, v3
	s_mul_i32 s1, s47, s51
	s_mul_hi_u32 s53, s47, s0
	s_mul_i32 s52, s50, s0
	s_add_i32 s1, s53, s1
	s_add_i32 s1, s1, s52
	s_mul_i32 s69, s47, s0
	s_mul_i32 s53, s0, s1
	s_mul_hi_u32 s70, s0, s69
	s_mul_hi_u32 s52, s0, s1
	s_add_u32 s53, s70, s53
	s_addc_u32 s52, 0, s52
	s_mul_hi_u32 s71, s51, s69
	s_mul_i32 s69, s51, s69
	s_add_u32 s53, s53, s69
	s_mul_hi_u32 s70, s51, s1
	s_addc_u32 s52, s52, s71
	s_addc_u32 s53, s70, 0
	s_mul_i32 s1, s51, s1
	s_add_u32 s1, s52, s1
	s_addc_u32 s52, 0, s53
	s_add_u32 s53, s0, s1
	s_cselect_b64 s[0:1], -1, 0
	s_cmp_lg_u64 s[0:1], 0
	s_addc_u32 s51, s51, s52
	s_mul_i32 s0, s47, s51
	s_mul_hi_u32 s1, s47, s53
	s_add_i32 s0, s1, s0
	s_mul_i32 s50, s50, s53
	s_add_i32 s0, s0, s50
	s_mul_i32 s47, s47, s53
	s_mul_hi_u32 s50, s51, s47
	s_mul_i32 s52, s51, s47
	s_mul_i32 s70, s53, s0
	s_mul_hi_u32 s47, s53, s47
	s_mul_hi_u32 s69, s53, s0
	s_add_u32 s47, s47, s70
	s_addc_u32 s69, 0, s69
	s_add_u32 s47, s47, s52
	s_mul_hi_u32 s1, s51, s0
	s_addc_u32 s47, s69, s50
	s_addc_u32 s1, s1, 0
	s_mul_i32 s0, s51, s0
	s_add_u32 s0, s47, s0
	s_addc_u32 s47, 0, s1
	s_add_u32 s50, s53, s0
	s_cselect_b64 s[0:1], -1, 0
	s_cmp_lg_u64 s[0:1], 0
	v_lshl_add_u64 v[8:9], v[0:1], 0, v[12:13]
	s_addc_u32 s47, s51, s47
	v_xor_b32_e32 v13, v8, v12
	v_xor_b32_e32 v3, v9, v12
	v_mad_u64_u32 v[8:9], s[0:1], v13, s47, 0
	v_mul_hi_u32 v10, v13, s50
	v_lshl_add_u64 v[8:9], v[10:11], 0, v[8:9]
	v_mad_u64_u32 v[14:15], s[0:1], v3, s50, 0
	v_add_co_u32_e32 v8, vcc, v8, v14
	v_mad_u64_u32 v[10:11], s[0:1], v3, s47, 0
	s_nop 0
	v_addc_co_u32_e32 v8, vcc, v9, v15, vcc
	v_mov_b32_e32 v9, v2
	s_nop 0
	v_addc_co_u32_e32 v11, vcc, 0, v11, vcc
	v_lshl_add_u64 v[8:9], v[8:9], 0, v[10:11]
	v_mul_lo_u32 v14, s49, v8
	v_mul_lo_u32 v15, s48, v9
	v_mad_u64_u32 v[10:11], s[0:1], s48, v8, 0
	v_add3_u32 v16, v11, v15, v14
	v_sub_u32_e32 v11, v3, v16
	v_mov_b32_e32 v14, s49
	v_sub_co_u32_e32 v13, vcc, v13, v10
	s_nop 1
	v_subb_co_u32_e64 v10, s[0:1], v11, v14, vcc
	v_subrev_co_u32_e64 v11, s[0:1], s48, v13
	v_subb_co_u32_e32 v3, vcc, v3, v16, vcc
	s_nop 0
	v_subbrev_co_u32_e64 v10, s[0:1], 0, v10, s[0:1]
	v_cmp_le_u32_e64 s[0:1], s49, v10
	v_cmp_le_u32_e32 vcc, s49, v3
	s_nop 0
	v_cndmask_b32_e64 v14, 0, -1, s[0:1]
	v_cmp_le_u32_e64 s[0:1], s48, v11
	s_nop 1
	v_cndmask_b32_e64 v11, 0, -1, s[0:1]
	v_cmp_eq_u32_e64 s[0:1], s49, v10
	s_nop 1
	v_cndmask_b32_e64 v17, v14, v11, s[0:1]
	v_lshl_add_u64 v[10:11], v[8:9], 0, 2
	v_lshl_add_u64 v[14:15], v[8:9], 0, 1
	v_cmp_ne_u32_e64 s[0:1], 0, v17
	s_nop 1
	v_cndmask_b32_e64 v11, v15, v11, s[0:1]
	v_cndmask_b32_e64 v15, 0, -1, vcc
	v_cmp_le_u32_e32 vcc, s48, v13
	s_nop 1
	v_cndmask_b32_e64 v13, 0, -1, vcc
	v_cmp_eq_u32_e32 vcc, s49, v3
	s_nop 1
	v_cndmask_b32_e32 v3, v15, v13, vcc
	v_cmp_ne_u32_e32 vcc, 0, v3
	s_nop 1
	v_cndmask_b32_e32 v3, v9, v11, vcc
	v_cndmask_b32_e64 v9, v14, v10, s[0:1]
	v_cndmask_b32_e32 v8, v8, v9, vcc
	v_xor_b32_e32 v9, s46, v12
	v_xor_b32_e32 v8, v8, v9
	;; [unrolled: 1-line block ×3, first 2 shown]
	v_sub_co_u32_e32 v8, vcc, v8, v9
	s_nop 1
	v_subb_co_u32_e32 v9, vcc, v3, v9, vcc
.LBB15_6:                               ;   in Loop: Header=BB15_4 Depth=1
	s_andn2_saveexec_b64 s[0:1], s[2:3]
	s_cbranch_execz .LBB15_8
; %bb.7:                                ;   in Loop: Header=BB15_4 Depth=1
	s_sub_i32 s2, 0, s58
	v_mul_lo_u32 v3, s2, v28
	v_mul_hi_u32 v3, v28, v3
	v_add_u32_e32 v3, v28, v3
	v_mul_hi_u32 v3, v0, v3
	v_mul_lo_u32 v8, v3, s58
	v_sub_u32_e32 v8, v0, v8
	v_subrev_u32_e32 v9, s58, v8
	v_cmp_le_u32_e32 vcc, s58, v8
	s_nop 1
	v_cndmask_b32_e32 v8, v8, v9, vcc
	v_add_u32_e32 v9, 1, v3
	v_cndmask_b32_e32 v3, v3, v9, vcc
	v_add_u32_e32 v9, 1, v3
	v_cmp_le_u32_e32 vcc, s58, v8
	s_nop 1
	v_cndmask_b32_e32 v8, v3, v9, vcc
	v_mov_b32_e32 v9, v2
.LBB15_8:                               ;   in Loop: Header=BB15_4 Depth=1
	s_or_b64 exec, exec, s[0:1]
	v_or_b32_e32 v3, s33, v1
	v_cmp_ne_u64_e32 vcc, 0, v[2:3]
                                        ; implicit-def: $vgpr10_vgpr11
	s_and_saveexec_b64 s[0:1], vcc
	s_xor_b64 s[2:3], exec, s[0:1]
	s_cbranch_execz .LBB15_10
; %bb.9:                                ;   in Loop: Header=BB15_4 Depth=1
	s_ashr_i32 s46, s33, 31
	s_add_u32 s0, s54, s46
	s_mov_b32 s47, s46
	s_addc_u32 s1, s33, s46
	s_xor_b64 s[48:49], s[0:1], s[46:47]
	v_cvt_f32_u32_e32 v3, s48
	v_cvt_f32_u32_e32 v10, s49
	s_sub_u32 s47, 0, s48
	s_subb_u32 s50, 0, s49
	v_mov_b32_e32 v13, v12
	v_fmac_f32_e32 v3, 0x4f800000, v10
	v_rcp_f32_e32 v3, v3
	v_mov_b32_e32 v15, v2
	v_mul_f32_e32 v3, 0x5f7ffffc, v3
	v_mul_f32_e32 v10, 0x2f800000, v3
	v_trunc_f32_e32 v10, v10
	v_fmac_f32_e32 v3, 0xcf800000, v10
	v_cvt_u32_f32_e32 v10, v10
	v_cvt_u32_f32_e32 v3, v3
	v_readfirstlane_b32 s51, v10
	v_readfirstlane_b32 s0, v3
	s_mul_i32 s1, s47, s51
	s_mul_hi_u32 s53, s47, s0
	s_mul_i32 s52, s50, s0
	s_add_i32 s1, s53, s1
	s_add_i32 s1, s1, s52
	s_mul_i32 s69, s47, s0
	s_mul_i32 s53, s0, s1
	s_mul_hi_u32 s70, s0, s69
	s_mul_hi_u32 s52, s0, s1
	s_add_u32 s53, s70, s53
	s_addc_u32 s52, 0, s52
	s_mul_hi_u32 s71, s51, s69
	s_mul_i32 s69, s51, s69
	s_add_u32 s53, s53, s69
	s_mul_hi_u32 s70, s51, s1
	s_addc_u32 s52, s52, s71
	s_addc_u32 s53, s70, 0
	s_mul_i32 s1, s51, s1
	s_add_u32 s1, s52, s1
	s_addc_u32 s52, 0, s53
	s_add_u32 s53, s0, s1
	s_cselect_b64 s[0:1], -1, 0
	s_cmp_lg_u64 s[0:1], 0
	s_addc_u32 s51, s51, s52
	s_mul_i32 s0, s47, s51
	s_mul_hi_u32 s1, s47, s53
	s_add_i32 s0, s1, s0
	s_mul_i32 s50, s50, s53
	s_add_i32 s0, s0, s50
	s_mul_i32 s47, s47, s53
	s_mul_hi_u32 s50, s51, s47
	s_mul_i32 s52, s51, s47
	s_mul_i32 s70, s53, s0
	s_mul_hi_u32 s47, s53, s47
	s_mul_hi_u32 s69, s53, s0
	s_add_u32 s47, s47, s70
	s_addc_u32 s69, 0, s69
	s_add_u32 s47, s47, s52
	s_mul_hi_u32 s1, s51, s0
	s_addc_u32 s47, s69, s50
	s_addc_u32 s1, s1, 0
	s_mul_i32 s0, s51, s0
	s_add_u32 s0, s47, s0
	s_addc_u32 s47, 0, s1
	s_add_u32 s50, s53, s0
	s_cselect_b64 s[0:1], -1, 0
	s_cmp_lg_u64 s[0:1], 0
	v_lshl_add_u64 v[10:11], v[0:1], 0, v[12:13]
	s_addc_u32 s47, s51, s47
	v_xor_b32_e32 v13, v10, v12
	v_xor_b32_e32 v3, v11, v12
	v_mad_u64_u32 v[10:11], s[0:1], v13, s47, 0
	v_mul_hi_u32 v14, v13, s50
	v_lshl_add_u64 v[10:11], v[14:15], 0, v[10:11]
	v_mad_u64_u32 v[16:17], s[0:1], v3, s50, 0
	v_add_co_u32_e32 v10, vcc, v10, v16
	v_mad_u64_u32 v[14:15], s[0:1], v3, s47, 0
	s_nop 0
	v_addc_co_u32_e32 v10, vcc, v11, v17, vcc
	v_mov_b32_e32 v11, v2
	s_nop 0
	v_addc_co_u32_e32 v15, vcc, 0, v15, vcc
	v_lshl_add_u64 v[10:11], v[10:11], 0, v[14:15]
	v_mul_lo_u32 v16, s49, v10
	v_mul_lo_u32 v17, s48, v11
	v_mad_u64_u32 v[14:15], s[0:1], s48, v10, 0
	v_add3_u32 v18, v15, v17, v16
	v_sub_u32_e32 v15, v3, v18
	v_mov_b32_e32 v16, s49
	v_sub_co_u32_e32 v13, vcc, v13, v14
	s_nop 1
	v_subb_co_u32_e64 v14, s[0:1], v15, v16, vcc
	v_subrev_co_u32_e64 v15, s[0:1], s48, v13
	v_subb_co_u32_e32 v3, vcc, v3, v18, vcc
	s_nop 0
	v_subbrev_co_u32_e64 v14, s[0:1], 0, v14, s[0:1]
	v_cmp_le_u32_e64 s[0:1], s49, v14
	v_cmp_le_u32_e32 vcc, s49, v3
	s_nop 0
	v_cndmask_b32_e64 v16, 0, -1, s[0:1]
	v_cmp_le_u32_e64 s[0:1], s48, v15
	s_nop 1
	v_cndmask_b32_e64 v15, 0, -1, s[0:1]
	v_cmp_eq_u32_e64 s[0:1], s49, v14
	s_nop 1
	v_cndmask_b32_e64 v19, v16, v15, s[0:1]
	v_lshl_add_u64 v[14:15], v[10:11], 0, 2
	v_lshl_add_u64 v[16:17], v[10:11], 0, 1
	v_cmp_ne_u32_e64 s[0:1], 0, v19
	s_nop 1
	v_cndmask_b32_e64 v15, v17, v15, s[0:1]
	v_cndmask_b32_e64 v17, 0, -1, vcc
	v_cmp_le_u32_e32 vcc, s48, v13
	s_nop 1
	v_cndmask_b32_e64 v13, 0, -1, vcc
	v_cmp_eq_u32_e32 vcc, s49, v3
	s_nop 1
	v_cndmask_b32_e32 v3, v17, v13, vcc
	v_cmp_ne_u32_e32 vcc, 0, v3
	s_nop 1
	v_cndmask_b32_e32 v3, v11, v15, vcc
	v_cndmask_b32_e64 v11, v16, v14, s[0:1]
	v_cndmask_b32_e32 v10, v10, v11, vcc
	v_xor_b32_e32 v11, s46, v12
	v_xor_b32_e32 v10, v10, v11
	;; [unrolled: 1-line block ×3, first 2 shown]
	v_sub_co_u32_e32 v10, vcc, v10, v11
	s_nop 1
	v_subb_co_u32_e32 v11, vcc, v3, v11, vcc
.LBB15_10:                              ;   in Loop: Header=BB15_4 Depth=1
	s_andn2_saveexec_b64 s[0:1], s[2:3]
	s_cbranch_execz .LBB15_12
; %bb.11:                               ;   in Loop: Header=BB15_4 Depth=1
	v_cvt_f32_u32_e32 v3, s54
	s_sub_i32 s2, 0, s54
	v_rcp_iflag_f32_e32 v3, v3
	s_nop 0
	v_mul_f32_e32 v3, 0x4f7ffffe, v3
	v_cvt_u32_f32_e32 v3, v3
	v_mul_lo_u32 v10, s2, v3
	v_mul_hi_u32 v10, v3, v10
	v_add_u32_e32 v3, v3, v10
	v_mul_hi_u32 v3, v0, v3
	v_mul_lo_u32 v10, v3, s54
	v_sub_u32_e32 v10, v0, v10
	v_add_u32_e32 v11, 1, v3
	v_subrev_u32_e32 v12, s54, v10
	v_cmp_le_u32_e32 vcc, s54, v10
	s_nop 1
	v_cndmask_b32_e32 v10, v10, v12, vcc
	v_cndmask_b32_e32 v3, v3, v11, vcc
	v_add_u32_e32 v11, 1, v3
	v_cmp_le_u32_e32 vcc, s54, v10
	s_nop 1
	v_cndmask_b32_e32 v10, v3, v11, vcc
	v_mov_b32_e32 v11, v2
.LBB15_12:                              ;   in Loop: Header=BB15_4 Depth=1
	s_or_b64 exec, exec, s[0:1]
	v_or_b32_e32 v3, s17, v11
	v_cmp_ne_u64_e32 vcc, 0, v[2:3]
                                        ; implicit-def: $vgpr12_vgpr13
	s_and_saveexec_b64 s[0:1], vcc
	s_xor_b64 s[46:47], exec, s[0:1]
	s_cbranch_execz .LBB15_14
; %bb.13:                               ;   in Loop: Header=BB15_4 Depth=1
	s_ashr_i32 s0, s17, 31
	s_add_u32 s2, s16, s0
	s_mov_b32 s1, s0
	s_addc_u32 s3, s17, s0
	s_xor_b64 s[48:49], s[2:3], s[0:1]
	v_cvt_f32_u32_e32 v3, s48
	v_cvt_f32_u32_e32 v12, s49
	s_sub_u32 s2, 0, s48
	s_subb_u32 s3, 0, s49
	v_ashrrev_i32_e32 v14, 31, v11
	v_fmac_f32_e32 v3, 0x4f800000, v12
	v_rcp_f32_e32 v3, v3
	v_mov_b32_e32 v15, v14
	v_mov_b32_e32 v17, v2
	v_mul_f32_e32 v3, 0x5f7ffffc, v3
	v_mul_f32_e32 v12, 0x2f800000, v3
	v_trunc_f32_e32 v12, v12
	v_fmac_f32_e32 v3, 0xcf800000, v12
	v_cvt_u32_f32_e32 v12, v12
	v_cvt_u32_f32_e32 v3, v3
	v_readfirstlane_b32 s50, v12
	v_readfirstlane_b32 s0, v3
	s_mul_i32 s1, s2, s50
	s_mul_hi_u32 s52, s2, s0
	s_mul_i32 s51, s3, s0
	s_add_i32 s1, s52, s1
	s_add_i32 s1, s1, s51
	s_mul_i32 s53, s2, s0
	s_mul_i32 s52, s0, s1
	s_mul_hi_u32 s69, s0, s53
	s_mul_hi_u32 s51, s0, s1
	s_add_u32 s52, s69, s52
	s_addc_u32 s51, 0, s51
	s_mul_hi_u32 s70, s50, s53
	s_mul_i32 s53, s50, s53
	s_add_u32 s52, s52, s53
	s_mul_hi_u32 s69, s50, s1
	s_addc_u32 s51, s51, s70
	s_addc_u32 s52, s69, 0
	s_mul_i32 s1, s50, s1
	s_add_u32 s1, s51, s1
	s_addc_u32 s51, 0, s52
	s_add_u32 s52, s0, s1
	s_cselect_b64 s[0:1], -1, 0
	s_cmp_lg_u64 s[0:1], 0
	s_addc_u32 s50, s50, s51
	s_mul_i32 s0, s2, s50
	s_mul_hi_u32 s1, s2, s52
	s_add_i32 s0, s1, s0
	s_mul_i32 s3, s3, s52
	s_add_i32 s0, s0, s3
	s_mul_i32 s2, s2, s52
	s_mul_hi_u32 s3, s50, s2
	s_mul_i32 s51, s50, s2
	s_mul_i32 s69, s52, s0
	s_mul_hi_u32 s2, s52, s2
	s_mul_hi_u32 s53, s52, s0
	s_add_u32 s2, s2, s69
	s_addc_u32 s53, 0, s53
	s_add_u32 s2, s2, s51
	s_mul_hi_u32 s1, s50, s0
	s_addc_u32 s2, s53, s3
	s_addc_u32 s1, s1, 0
	s_mul_i32 s0, s50, s0
	s_add_u32 s0, s2, s0
	s_addc_u32 s2, 0, s1
	s_add_u32 s3, s52, s0
	s_cselect_b64 s[0:1], -1, 0
	s_cmp_lg_u64 s[0:1], 0
	v_lshl_add_u64 v[12:13], v[10:11], 0, v[14:15]
	s_addc_u32 s2, s50, s2
	v_xor_b32_e32 v15, v12, v14
	v_xor_b32_e32 v3, v13, v14
	v_mad_u64_u32 v[12:13], s[0:1], v15, s2, 0
	v_mul_hi_u32 v16, v15, s3
	v_lshl_add_u64 v[12:13], v[16:17], 0, v[12:13]
	v_mad_u64_u32 v[18:19], s[0:1], v3, s3, 0
	v_add_co_u32_e32 v12, vcc, v12, v18
	v_mad_u64_u32 v[16:17], s[0:1], v3, s2, 0
	s_nop 0
	v_addc_co_u32_e32 v12, vcc, v13, v19, vcc
	v_mov_b32_e32 v13, v2
	s_nop 0
	v_addc_co_u32_e32 v17, vcc, 0, v17, vcc
	v_lshl_add_u64 v[12:13], v[12:13], 0, v[16:17]
	v_mul_lo_u32 v16, s49, v12
	v_mul_lo_u32 v17, s48, v13
	v_mad_u64_u32 v[12:13], s[0:1], s48, v12, 0
	v_add3_u32 v13, v13, v17, v16
	v_sub_u32_e32 v16, v3, v13
	v_mov_b32_e32 v17, s49
	v_sub_co_u32_e32 v12, vcc, v15, v12
	s_nop 1
	v_subb_co_u32_e64 v15, s[0:1], v16, v17, vcc
	v_subrev_co_u32_e64 v16, s[0:1], s48, v12
	v_subb_co_u32_e32 v3, vcc, v3, v13, vcc
	s_nop 0
	v_subbrev_co_u32_e64 v18, s[2:3], 0, v15, s[0:1]
	v_cmp_le_u32_e64 s[2:3], s49, v18
	v_subb_co_u32_e64 v15, s[0:1], v15, v17, s[0:1]
	s_nop 0
	v_cndmask_b32_e64 v19, 0, -1, s[2:3]
	v_cmp_le_u32_e64 s[2:3], s48, v16
	v_subrev_co_u32_e64 v17, s[0:1], s48, v16
	s_nop 0
	v_cndmask_b32_e64 v20, 0, -1, s[2:3]
	v_cmp_eq_u32_e64 s[2:3], s49, v18
	v_subbrev_co_u32_e64 v15, s[0:1], 0, v15, s[0:1]
	s_nop 0
	v_cndmask_b32_e64 v19, v19, v20, s[2:3]
	v_cmp_le_u32_e32 vcc, s49, v3
	v_cmp_ne_u32_e64 s[0:1], 0, v19
	s_nop 0
	v_cndmask_b32_e64 v13, 0, -1, vcc
	v_cmp_le_u32_e32 vcc, s48, v12
	v_cndmask_b32_e64 v15, v18, v15, s[0:1]
	s_nop 0
	v_cndmask_b32_e64 v18, 0, -1, vcc
	v_cmp_eq_u32_e32 vcc, s49, v3
	s_nop 1
	v_cndmask_b32_e32 v13, v13, v18, vcc
	v_cmp_ne_u32_e32 vcc, 0, v13
	v_cndmask_b32_e64 v13, v16, v17, s[0:1]
	s_nop 0
	v_cndmask_b32_e32 v12, v12, v13, vcc
	v_cndmask_b32_e32 v3, v3, v15, vcc
	v_xor_b32_e32 v12, v12, v14
	v_xor_b32_e32 v3, v3, v14
	v_sub_co_u32_e32 v12, vcc, v12, v14
	s_nop 1
	v_subb_co_u32_e32 v13, vcc, v3, v14, vcc
.LBB15_14:                              ;   in Loop: Header=BB15_4 Depth=1
	s_andn2_saveexec_b64 s[0:1], s[46:47]
	s_cbranch_execz .LBB15_16
; %bb.15:                               ;   in Loop: Header=BB15_4 Depth=1
	v_cvt_f32_u32_e32 v3, s16
	s_sub_i32 s2, 0, s16
	v_mov_b32_e32 v13, v2
	v_rcp_iflag_f32_e32 v3, v3
	s_nop 0
	v_mul_f32_e32 v3, 0x4f7ffffe, v3
	v_cvt_u32_f32_e32 v3, v3
	v_mul_lo_u32 v12, s2, v3
	v_mul_hi_u32 v12, v3, v12
	v_add_u32_e32 v3, v3, v12
	v_mul_hi_u32 v3, v10, v3
	v_mul_lo_u32 v3, v3, s16
	v_sub_u32_e32 v3, v10, v3
	v_subrev_u32_e32 v12, s16, v3
	v_cmp_le_u32_e32 vcc, s16, v3
	s_nop 1
	v_cndmask_b32_e32 v3, v3, v12, vcc
	v_subrev_u32_e32 v12, s16, v3
	v_cmp_le_u32_e32 vcc, s16, v3
	s_nop 1
	v_cndmask_b32_e32 v12, v3, v12, vcc
.LBB15_16:                              ;   in Loop: Header=BB15_4 Depth=1
	s_or_b64 exec, exec, s[0:1]
	v_mad_u64_u32 v[14:15], s[0:1], s67, v10, v[0:1]
	v_mul_lo_u32 v3, s67, v11
	v_mul_lo_u32 v16, s68, v10
	v_add3_u32 v15, v16, v15, v3
	v_or_b32_e32 v3, s9, v15
	v_cmp_ne_u64_e32 vcc, 0, v[2:3]
                                        ; implicit-def: $vgpr18_vgpr19
	s_and_saveexec_b64 s[0:1], vcc
	s_xor_b64 s[2:3], exec, s[0:1]
	s_cbranch_execz .LBB15_18
; %bb.17:                               ;   in Loop: Header=BB15_4 Depth=1
	s_ashr_i32 s46, s9, 31
	s_add_u32 s0, s8, s46
	s_mov_b32 s47, s46
	s_addc_u32 s1, s9, s46
	s_xor_b64 s[48:49], s[0:1], s[46:47]
	v_cvt_f32_u32_e32 v3, s48
	v_cvt_f32_u32_e32 v16, s49
	s_sub_u32 s47, 0, s48
	s_subb_u32 s50, 0, s49
	v_mov_b32_e32 v19, v2
	v_fmac_f32_e32 v3, 0x4f800000, v16
	v_rcp_f32_e32 v3, v3
	s_nop 0
	v_mul_f32_e32 v3, 0x5f7ffffc, v3
	v_mul_f32_e32 v16, 0x2f800000, v3
	v_trunc_f32_e32 v16, v16
	v_fmac_f32_e32 v3, 0xcf800000, v16
	v_cvt_u32_f32_e32 v16, v16
	v_cvt_u32_f32_e32 v3, v3
	v_readfirstlane_b32 s51, v16
	v_readfirstlane_b32 s0, v3
	s_mul_i32 s1, s47, s51
	s_mul_hi_u32 s53, s47, s0
	s_mul_i32 s52, s50, s0
	s_add_i32 s1, s53, s1
	s_add_i32 s1, s1, s52
	s_mul_i32 s69, s47, s0
	s_mul_i32 s53, s0, s1
	s_mul_hi_u32 s70, s0, s69
	s_mul_hi_u32 s52, s0, s1
	s_add_u32 s53, s70, s53
	s_addc_u32 s52, 0, s52
	s_mul_hi_u32 s71, s51, s69
	s_mul_i32 s69, s51, s69
	s_add_u32 s53, s53, s69
	s_mul_hi_u32 s70, s51, s1
	s_addc_u32 s52, s52, s71
	s_addc_u32 s53, s70, 0
	s_mul_i32 s1, s51, s1
	s_add_u32 s1, s52, s1
	s_addc_u32 s52, 0, s53
	s_add_u32 s53, s0, s1
	s_cselect_b64 s[0:1], -1, 0
	s_cmp_lg_u64 s[0:1], 0
	s_addc_u32 s51, s51, s52
	s_mul_i32 s0, s47, s51
	s_mul_hi_u32 s1, s47, s53
	s_add_i32 s0, s1, s0
	s_mul_i32 s50, s50, s53
	s_add_i32 s0, s0, s50
	s_mul_i32 s47, s47, s53
	s_mul_hi_u32 s50, s51, s47
	s_mul_i32 s52, s51, s47
	s_mul_i32 s70, s53, s0
	s_mul_hi_u32 s47, s53, s47
	s_mul_hi_u32 s69, s53, s0
	s_add_u32 s47, s47, s70
	s_addc_u32 s69, 0, s69
	s_add_u32 s47, s47, s52
	s_mul_hi_u32 s1, s51, s0
	s_addc_u32 s47, s69, s50
	s_addc_u32 s1, s1, 0
	s_mul_i32 s0, s51, s0
	s_add_u32 s0, s47, s0
	s_addc_u32 s47, 0, s1
	s_add_u32 s50, s53, s0
	v_ashrrev_i32_e32 v16, 31, v15
	s_cselect_b64 s[0:1], -1, 0
	v_mov_b32_e32 v17, v16
	s_cmp_lg_u64 s[0:1], 0
	v_lshl_add_u64 v[14:15], v[14:15], 0, v[16:17]
	s_addc_u32 s47, s51, s47
	v_xor_b32_e32 v17, v14, v16
	v_xor_b32_e32 v3, v15, v16
	v_mad_u64_u32 v[14:15], s[0:1], v17, s47, 0
	v_mul_hi_u32 v18, v17, s50
	v_lshl_add_u64 v[14:15], v[18:19], 0, v[14:15]
	v_mad_u64_u32 v[20:21], s[0:1], v3, s50, 0
	v_add_co_u32_e32 v14, vcc, v14, v20
	v_mad_u64_u32 v[18:19], s[0:1], v3, s47, 0
	s_nop 0
	v_addc_co_u32_e32 v14, vcc, v15, v21, vcc
	v_mov_b32_e32 v15, v2
	s_nop 0
	v_addc_co_u32_e32 v19, vcc, 0, v19, vcc
	v_lshl_add_u64 v[14:15], v[14:15], 0, v[18:19]
	v_mul_lo_u32 v20, s49, v14
	v_mul_lo_u32 v21, s48, v15
	v_mad_u64_u32 v[18:19], s[0:1], s48, v14, 0
	v_add3_u32 v22, v19, v21, v20
	v_sub_u32_e32 v19, v3, v22
	v_mov_b32_e32 v20, s49
	v_sub_co_u32_e32 v17, vcc, v17, v18
	s_nop 1
	v_subb_co_u32_e64 v18, s[0:1], v19, v20, vcc
	v_subrev_co_u32_e64 v19, s[0:1], s48, v17
	v_subb_co_u32_e32 v3, vcc, v3, v22, vcc
	s_nop 0
	v_subbrev_co_u32_e64 v18, s[0:1], 0, v18, s[0:1]
	v_cmp_le_u32_e64 s[0:1], s49, v18
	v_cmp_le_u32_e32 vcc, s49, v3
	s_nop 0
	v_cndmask_b32_e64 v20, 0, -1, s[0:1]
	v_cmp_le_u32_e64 s[0:1], s48, v19
	s_nop 1
	v_cndmask_b32_e64 v19, 0, -1, s[0:1]
	v_cmp_eq_u32_e64 s[0:1], s49, v18
	s_nop 1
	v_cndmask_b32_e64 v23, v20, v19, s[0:1]
	v_lshl_add_u64 v[18:19], v[14:15], 0, 2
	v_lshl_add_u64 v[20:21], v[14:15], 0, 1
	v_cmp_ne_u32_e64 s[0:1], 0, v23
	s_nop 1
	v_cndmask_b32_e64 v19, v21, v19, s[0:1]
	v_cndmask_b32_e64 v21, 0, -1, vcc
	v_cmp_le_u32_e32 vcc, s48, v17
	s_nop 1
	v_cndmask_b32_e64 v17, 0, -1, vcc
	v_cmp_eq_u32_e32 vcc, s49, v3
	s_nop 1
	v_cndmask_b32_e32 v3, v21, v17, vcc
	v_cmp_ne_u32_e32 vcc, 0, v3
	s_nop 1
	v_cndmask_b32_e32 v3, v15, v19, vcc
	v_cndmask_b32_e64 v15, v20, v18, s[0:1]
	v_cndmask_b32_e32 v14, v14, v15, vcc
	v_xor_b32_e32 v15, s46, v16
	v_xor_b32_e32 v14, v14, v15
	;; [unrolled: 1-line block ×3, first 2 shown]
	v_sub_co_u32_e32 v18, vcc, v14, v15
	s_nop 1
	v_subb_co_u32_e32 v19, vcc, v3, v15, vcc
                                        ; implicit-def: $vgpr14_vgpr15
.LBB15_18:                              ;   in Loop: Header=BB15_4 Depth=1
	s_andn2_saveexec_b64 s[0:1], s[2:3]
	s_cbranch_execz .LBB15_20
; %bb.19:                               ;   in Loop: Header=BB15_4 Depth=1
	v_cvt_f32_u32_e32 v3, s8
	s_sub_i32 s2, 0, s8
	v_mov_b32_e32 v19, v2
	v_rcp_iflag_f32_e32 v3, v3
	s_nop 0
	v_mul_f32_e32 v3, 0x4f7ffffe, v3
	v_cvt_u32_f32_e32 v3, v3
	v_mul_lo_u32 v15, s2, v3
	v_mul_hi_u32 v15, v3, v15
	v_add_u32_e32 v3, v3, v15
	v_mul_hi_u32 v3, v14, v3
	v_mul_lo_u32 v15, v3, s8
	v_sub_u32_e32 v14, v14, v15
	v_add_u32_e32 v16, 1, v3
	v_subrev_u32_e32 v15, s8, v14
	v_cmp_le_u32_e32 vcc, s8, v14
	s_nop 1
	v_cndmask_b32_e32 v14, v14, v15, vcc
	v_cndmask_b32_e32 v3, v3, v16, vcc
	v_add_u32_e32 v15, 1, v3
	v_cmp_le_u32_e32 vcc, s8, v14
	s_nop 1
	v_cndmask_b32_e32 v18, v3, v15, vcc
.LBB15_20:                              ;   in Loop: Header=BB15_4 Depth=1
	s_or_b64 exec, exec, s[0:1]
	v_mul_lo_u32 v3, v11, s54
	v_mul_lo_u32 v16, v10, s33
	v_mad_u64_u32 v[14:15], s[0:1], v10, s54, 0
	v_add3_u32 v3, v15, v16, v3
	v_sub_co_u32_e32 v16, vcc, v0, v14
	v_mul_lo_u32 v17, v19, s8
	s_nop 0
	v_subb_co_u32_e32 v3, vcc, v1, v3, vcc
	v_mul_lo_u32 v20, v18, s9
	v_mad_u64_u32 v[14:15], s[0:1], v18, s8, 0
	v_add3_u32 v15, v15, v20, v17
	v_sub_co_u32_e32 v30, vcc, v16, v14
	v_mul_lo_u32 v16, s65, v11
	s_nop 0
	v_subb_co_u32_e32 v31, vcc, v3, v15, vcc
	v_mul_lo_u32 v3, s66, v10
	v_mad_u64_u32 v[14:15], s[0:1], s65, v10, 0
	v_add3_u32 v15, v15, v16, v3
	v_sub_co_u32_e32 v3, vcc, v14, v18
	v_mul_lo_u32 v16, s9, v3
	s_nop 0
	v_subb_co_u32_e32 v29, vcc, v15, v19, vcc
	v_mul_lo_u32 v17, s8, v29
	v_mad_u64_u32 v[20:21], s[0:1], s8, v3, 0
	v_mad_u64_u32 v[14:15], s[0:1], s8, v3, v[0:1]
	v_add3_u32 v21, v21, v17, v16
	v_add3_u32 v15, v16, v15, v17
	v_cmp_lt_i64_e32 vcc, 0, v[18:19]
	v_cmp_ge_i64_e64 s[0:1], s[22:23], v[18:19]
	s_and_b64 s[50:51], vcc, s[0:1]
	v_cmp_eq_u64_e32 vcc, v[20:21], v[4:5]
	v_cmp_lt_i64_e64 s[0:1], s[20:21], v[14:15]
	s_or_b64 s[46:47], vcc, s[0:1]
	v_cmp_gt_i64_e32 vcc, s[28:29], v[14:15]
	v_cmp_le_i64_e64 s[0:1], s[36:37], v[14:15]
	s_and_b64 s[2:3], vcc, s[0:1]
	v_mov_b64_e32 v[14:15], 0
	v_lshl_add_u64 v[22:23], s[20:21], 0, v[0:1]
	v_mov_b64_e32 v[16:17], 0
	s_and_saveexec_b64 s[48:49], s[50:51]
	s_cbranch_execz .LBB15_28
; %bb.21:                               ;   in Loop: Header=BB15_4 Depth=1
	v_mov_b32_e32 v14, s23
	v_sub_co_u32_e32 v26, vcc, s22, v18
	v_mul_lo_u32 v33, v26, s56
	s_nop 0
	v_subb_co_u32_e32 v14, vcc, v14, v19, vcc
	v_mul_lo_u32 v32, v14, s55
	v_mad_u64_u32 v[14:15], s[0:1], v26, s55, v[20:21]
	v_add3_u32 v15, v32, v15, v33
	v_lshl_add_u64 v[24:25], v[22:23], 0, v[14:15]
	v_cmp_gt_i64_e32 vcc, s[24:25], v[24:25]
	v_mov_b64_e32 v[16:17], 0
	v_mov_b64_e32 v[14:15], 0
	s_and_saveexec_b64 s[0:1], vcc
	s_cbranch_execz .LBB15_23
; %bb.22:                               ;   in Loop: Header=BB15_4 Depth=1
	v_mul_lo_u32 v16, s59, v8
	v_mul_lo_u32 v17, s60, v9
	v_mad_u64_u32 v[14:15], s[50:51], s60, v8, 0
	v_add3_u32 v15, v15, v17, v16
	v_mul_lo_u32 v27, v13, s24
	v_mul_lo_u32 v34, v12, s25
	v_mad_u64_u32 v[16:17], s[50:51], v12, s24, 0
	v_add3_u32 v17, v17, v34, v27
	v_lshl_add_u64 v[14:15], v[14:15], 4, s[6:7]
	v_lshl_add_u64 v[14:15], v[16:17], 4, v[14:15]
	;; [unrolled: 1-line block ×3, first 2 shown]
	global_load_dwordx4 v[34:37], v[14:15], off
	s_waitcnt vmcnt(0)
	v_add_f64 v[16:17], v[34:35], 0
	v_add_f64 v[14:15], v[36:37], 0
.LBB15_23:                              ;   in Loop: Header=BB15_4 Depth=1
	s_or_b64 exec, exec, s[0:1]
	v_mad_u64_u32 v[26:27], s[0:1], v26, s55, 0
	v_add3_u32 v27, v27, v33, v32
	s_mov_b64 s[52:53], 0
                                        ; implicit-def: $vgpr24_vgpr25
	s_and_saveexec_b64 s[0:1], s[46:47]
	s_xor_b64 s[50:51], exec, s[0:1]
	s_cbranch_execnz .LBB15_45
; %bb.24:                               ;   in Loop: Header=BB15_4 Depth=1
	s_andn2_saveexec_b64 s[50:51], s[50:51]
	s_cbranch_execnz .LBB15_48
.LBB15_25:                              ;   in Loop: Header=BB15_4 Depth=1
	s_or_b64 exec, exec, s[50:51]
	s_and_saveexec_b64 s[0:1], s[52:53]
	s_cbranch_execz .LBB15_27
.LBB15_26:                              ;   in Loop: Header=BB15_4 Depth=1
	v_mul_lo_u32 v32, s59, v8
	v_mul_lo_u32 v33, s60, v9
	v_mad_u64_u32 v[26:27], s[50:51], s60, v8, 0
	v_add3_u32 v27, v27, v33, v32
	v_mul_lo_u32 v34, v13, s24
	v_mul_lo_u32 v35, v12, s25
	v_mad_u64_u32 v[32:33], s[50:51], v12, s24, 0
	v_add3_u32 v33, v33, v35, v34
	v_lshl_add_u64 v[26:27], v[26:27], 4, s[6:7]
	v_lshl_add_u64 v[26:27], v[32:33], 4, v[26:27]
	v_lshl_add_u64 v[24:25], v[24:25], 4, v[26:27]
	global_load_dwordx4 v[24:27], v[24:25], off
	s_waitcnt vmcnt(0)
	v_add_f64 v[16:17], v[16:17], v[24:25]
	v_add_f64 v[14:15], v[14:15], v[26:27]
.LBB15_27:                              ;   in Loop: Header=BB15_4 Depth=1
	s_or_b64 exec, exec, s[0:1]
.LBB15_28:                              ;   in Loop: Header=BB15_4 Depth=1
	s_or_b64 exec, exec, s[48:49]
	v_cmp_gt_i64_e32 vcc, s[30:31], v[18:19]
	v_cmp_le_i64_e64 s[0:1], s[34:35], v[18:19]
	s_and_b64 s[0:1], vcc, s[0:1]
	s_and_saveexec_b64 s[48:49], s[0:1]
	s_cbranch_execz .LBB15_36
; %bb.29:                               ;   in Loop: Header=BB15_4 Depth=1
	v_mov_b32_e32 v25, s64
	v_sub_co_u32_e32 v24, vcc, s63, v18
	v_mul_lo_u32 v26, s56, v24
	s_nop 0
	v_subb_co_u32_e32 v25, vcc, v25, v19, vcc
	v_mul_lo_u32 v27, s55, v25
	v_mad_u64_u32 v[32:33], s[0:1], s55, v24, v[20:21]
	v_add3_u32 v33, v26, v33, v27
	v_lshl_add_u64 v[22:23], v[22:23], 0, v[32:33]
	v_cmp_lt_i64_e32 vcc, -1, v[22:23]
	v_cmp_gt_i64_e64 s[0:1], s[24:25], v[22:23]
	s_and_b64 s[50:51], vcc, s[0:1]
	s_and_saveexec_b64 s[0:1], s[50:51]
	s_cbranch_execz .LBB15_31
; %bb.30:                               ;   in Loop: Header=BB15_4 Depth=1
	v_mul_lo_u32 v25, s59, v8
	v_mul_lo_u32 v34, s60, v9
	v_mad_u64_u32 v[32:33], s[50:51], s60, v8, 0
	v_add3_u32 v33, v33, v34, v25
	v_mul_lo_u32 v25, v13, s24
	v_mul_lo_u32 v36, v12, s25
	v_mad_u64_u32 v[34:35], s[50:51], v12, s24, 0
	v_add3_u32 v35, v35, v36, v25
	v_lshl_add_u64 v[32:33], v[32:33], 4, s[6:7]
	v_lshl_add_u64 v[32:33], v[34:35], 4, v[32:33]
	;; [unrolled: 1-line block ×3, first 2 shown]
	global_load_dwordx4 v[32:35], v[22:23], off
	s_waitcnt vmcnt(0)
	v_add_f64 v[16:17], v[16:17], v[32:33]
	v_add_f64 v[14:15], v[14:15], v[34:35]
.LBB15_31:                              ;   in Loop: Header=BB15_4 Depth=1
	s_or_b64 exec, exec, s[0:1]
	v_mad_u64_u32 v[24:25], s[0:1], s55, v24, 0
	v_add3_u32 v25, v25, v27, v26
	s_mov_b64 s[52:53], 0
                                        ; implicit-def: $vgpr22_vgpr23
	s_and_saveexec_b64 s[0:1], s[46:47]
	s_xor_b64 s[50:51], exec, s[0:1]
	s_cbranch_execnz .LBB15_49
; %bb.32:                               ;   in Loop: Header=BB15_4 Depth=1
	s_andn2_saveexec_b64 s[50:51], s[50:51]
	s_cbranch_execnz .LBB15_52
.LBB15_33:                              ;   in Loop: Header=BB15_4 Depth=1
	s_or_b64 exec, exec, s[50:51]
	s_and_saveexec_b64 s[0:1], s[52:53]
	s_cbranch_execz .LBB15_35
.LBB15_34:                              ;   in Loop: Header=BB15_4 Depth=1
	v_mul_lo_u32 v26, s59, v8
	v_mul_lo_u32 v27, s60, v9
	v_mad_u64_u32 v[24:25], s[50:51], s60, v8, 0
	v_add3_u32 v25, v25, v27, v26
	v_mul_lo_u32 v30, v13, s24
	v_mul_lo_u32 v31, v12, s25
	v_mad_u64_u32 v[26:27], s[50:51], v12, s24, 0
	v_add3_u32 v27, v27, v31, v30
	v_lshl_add_u64 v[24:25], v[24:25], 4, s[6:7]
	v_lshl_add_u64 v[24:25], v[26:27], 4, v[24:25]
	v_lshl_add_u64 v[22:23], v[22:23], 4, v[24:25]
	global_load_dwordx4 v[22:25], v[22:23], off
	s_waitcnt vmcnt(0)
	v_add_f64 v[16:17], v[16:17], v[22:23]
	v_add_f64 v[14:15], v[14:15], v[24:25]
.LBB15_35:                              ;   in Loop: Header=BB15_4 Depth=1
	s_or_b64 exec, exec, s[0:1]
.LBB15_36:                              ;   in Loop: Header=BB15_4 Depth=1
	s_or_b64 exec, exec, s[48:49]
	v_lshl_add_u64 v[26:27], v[18:19], 0, s[22:23]
	v_mul_lo_u32 v30, v27, s55
	v_mul_lo_u32 v27, v26, s56
                                        ; implicit-def: $vgpr22_vgpr23
	s_and_saveexec_b64 s[0:1], s[46:47]
	s_xor_b64 s[0:1], exec, s[0:1]
	s_cbranch_execnz .LBB15_39
; %bb.37:                               ;   in Loop: Header=BB15_4 Depth=1
	s_or_saveexec_b64 s[46:47], s[0:1]
	v_lshl_add_u64 v[24:25], s[20:21], 0, v[4:5]
	s_xor_b64 exec, exec, s[46:47]
	s_cbranch_execnz .LBB15_40
.LBB15_38:                              ;   in Loop: Header=BB15_4 Depth=1
	s_or_b64 exec, exec, s[46:47]
	s_and_saveexec_b64 s[46:47], s[2:3]
	s_cbranch_execz .LBB15_3
	s_branch .LBB15_43
.LBB15_39:                              ;   in Loop: Header=BB15_4 Depth=1
	v_mad_u64_u32 v[22:23], s[46:47], v26, s55, 0
	v_add3_u32 v23, v23, v27, v30
                                        ; implicit-def: $vgpr26_vgpr27
                                        ; implicit-def: $vgpr27
                                        ; implicit-def: $vgpr30
                                        ; implicit-def: $vgpr20_vgpr21
	s_or_saveexec_b64 s[46:47], s[0:1]
	v_lshl_add_u64 v[24:25], s[20:21], 0, v[4:5]
	s_xor_b64 exec, exec, s[46:47]
	s_cbranch_execz .LBB15_38
.LBB15_40:                              ;   in Loop: Header=BB15_4 Depth=1
	v_mad_u64_u32 v[22:23], s[0:1], v26, s55, 0
	v_add3_u32 v23, v23, v27, v30
	v_sub_co_u32_e32 v20, vcc, v22, v20
	s_nop 1
	v_subb_co_u32_e32 v21, vcc, v23, v21, vcc
	v_lshl_add_u64 v[20:21], v[24:25], 0, v[20:21]
	v_cmp_lt_i64_e32 vcc, -1, v[20:21]
	v_cmp_gt_i64_e64 s[0:1], s[24:25], v[20:21]
	s_and_b64 s[48:49], vcc, s[0:1]
	s_and_saveexec_b64 s[0:1], s[48:49]
	s_cbranch_execz .LBB15_42
; %bb.41:                               ;   in Loop: Header=BB15_4 Depth=1
	v_mul_lo_u32 v30, s59, v8
	v_mul_lo_u32 v31, s60, v9
	v_mad_u64_u32 v[26:27], s[48:49], s60, v8, 0
	v_add3_u32 v27, v27, v31, v30
	v_mul_lo_u32 v32, v13, s24
	v_mul_lo_u32 v33, v12, s25
	v_mad_u64_u32 v[30:31], s[48:49], v12, s24, 0
	v_add3_u32 v31, v31, v33, v32
	v_lshl_add_u64 v[26:27], v[26:27], 4, s[6:7]
	v_lshl_add_u64 v[26:27], v[30:31], 4, v[26:27]
	;; [unrolled: 1-line block ×3, first 2 shown]
	global_load_dwordx4 v[30:33], v[20:21], off
	s_waitcnt vmcnt(0)
	v_add_f64 v[16:17], v[16:17], v[30:31]
	v_add_f64 v[14:15], v[14:15], v[32:33]
.LBB15_42:                              ;   in Loop: Header=BB15_4 Depth=1
	s_or_b64 exec, exec, s[0:1]
	s_or_b64 exec, exec, s[46:47]
	s_and_saveexec_b64 s[46:47], s[2:3]
	s_cbranch_execz .LBB15_3
.LBB15_43:                              ;   in Loop: Header=BB15_4 Depth=1
	v_mad_u64_u32 v[18:19], s[0:1], s10, v10, v[18:19]
	v_mul_lo_u32 v11, s10, v11
	v_mul_lo_u32 v10, s11, v10
	v_add3_u32 v19, v10, v19, v11
	v_lshl_add_u64 v[10:11], v[18:19], 0, 2
	v_mul_lo_u32 v18, s8, v11
	v_mul_lo_u32 v19, s9, v10
	v_mad_u64_u32 v[10:11], s[0:1], s8, v10, v[22:23]
	v_add3_u32 v11, v19, v11, v18
	v_lshl_add_u64 v[10:11], v[24:25], 0, v[10:11]
	v_lshl_add_u64 v[10:11], v[10:11], 0, -2
	v_cmp_lt_i64_e32 vcc, -1, v[10:11]
	v_cmp_gt_i64_e64 s[0:1], s[24:25], v[10:11]
	s_and_b64 s[2:3], vcc, s[0:1]
	s_and_saveexec_b64 s[0:1], s[2:3]
	s_cbranch_execz .LBB15_2
; %bb.44:                               ;   in Loop: Header=BB15_4 Depth=1
	v_mul_lo_u32 v20, s59, v8
	v_mul_lo_u32 v21, s60, v9
	v_mad_u64_u32 v[18:19], s[2:3], s60, v8, 0
	v_add3_u32 v19, v19, v21, v20
	v_mul_lo_u32 v24, v13, s24
	v_mul_lo_u32 v25, v12, s25
	v_mad_u64_u32 v[20:21], s[2:3], v12, s24, 0
	v_add3_u32 v21, v21, v25, v24
	v_lshl_add_u64 v[18:19], v[18:19], 4, s[6:7]
	v_lshl_add_u64 v[18:19], v[20:21], 4, v[18:19]
	;; [unrolled: 1-line block ×3, first 2 shown]
	global_load_dwordx4 v[18:21], v[10:11], off
	s_waitcnt vmcnt(0)
	v_add_f64 v[16:17], v[16:17], v[18:19]
	v_add_f64 v[14:15], v[14:15], v[20:21]
	s_branch .LBB15_2
.LBB15_45:                              ;   in Loop: Header=BB15_4 Depth=1
	s_mov_b64 s[0:1], 0
                                        ; implicit-def: $vgpr24_vgpr25
	s_and_saveexec_b64 s[52:53], s[2:3]
	s_xor_b64 s[52:53], exec, s[52:53]
	s_cbranch_execz .LBB15_47
; %bb.46:                               ;   in Loop: Header=BB15_4 Depth=1
	v_mad_u64_u32 v[32:33], s[0:1], s10, v10, v[18:19]
	v_mul_lo_u32 v34, s10, v11
	v_mul_lo_u32 v35, s11, v10
	v_mov_b32_e32 v25, s62
	v_sub_co_u32_e32 v24, vcc, s61, v30
	v_add3_u32 v33, v35, v33, v34
	s_nop 0
	v_subb_co_u32_e32 v25, vcc, v25, v31, vcc
	v_lshl_add_u64 v[32:33], v[32:33], 0, 2
	v_lshl_add_u64 v[24:25], v[24:25], 0, v[26:27]
	v_mul_lo_u32 v33, s8, v33
	v_mul_lo_u32 v34, s9, v32
	v_mad_u64_u32 v[26:27], s[0:1], s8, v32, v[26:27]
	v_add3_u32 v27, v34, v27, v33
	v_lshl_add_u64 v[32:33], s[20:21], 0, v[4:5]
	v_lshl_add_u64 v[26:27], v[32:33], 0, v[26:27]
	v_lshl_add_u64 v[26:27], v[26:27], 0, -2
	v_cmp_lt_i64_e32 vcc, -1, v[26:27]
	v_cmp_gt_i64_e64 s[0:1], s[24:25], v[26:27]
	s_and_b64 s[0:1], vcc, s[0:1]
	s_and_b64 s[0:1], s[0:1], exec
.LBB15_47:                              ;   in Loop: Header=BB15_4 Depth=1
	s_or_b64 exec, exec, s[52:53]
	s_and_b64 s[52:53], s[0:1], exec
                                        ; implicit-def: $vgpr26_vgpr27
	s_andn2_saveexec_b64 s[50:51], s[50:51]
	s_cbranch_execz .LBB15_25
.LBB15_48:                              ;   in Loop: Header=BB15_4 Depth=1
	v_sub_co_u32_e32 v24, vcc, v26, v20
	s_andn2_b64 s[52:53], s[52:53], exec
	s_nop 0
	v_subb_co_u32_e32 v25, vcc, v27, v21, vcc
	v_lshl_add_u64 v[26:27], s[20:21], 0, v[4:5]
	v_lshl_add_u64 v[24:25], v[26:27], 0, v[24:25]
	v_cmp_lt_i64_e32 vcc, -1, v[24:25]
	v_cmp_gt_i64_e64 s[0:1], s[24:25], v[24:25]
	s_and_b64 s[0:1], vcc, s[0:1]
	s_and_b64 s[0:1], s[0:1], exec
	s_or_b64 s[52:53], s[52:53], s[0:1]
	s_or_b64 exec, exec, s[50:51]
	s_and_saveexec_b64 s[0:1], s[52:53]
	s_cbranch_execnz .LBB15_26
	s_branch .LBB15_27
.LBB15_49:                              ;   in Loop: Header=BB15_4 Depth=1
	s_mov_b64 s[0:1], 0
                                        ; implicit-def: $vgpr22_vgpr23
	s_and_saveexec_b64 s[52:53], s[2:3]
	s_xor_b64 s[52:53], exec, s[52:53]
	s_cbranch_execz .LBB15_51
; %bb.50:                               ;   in Loop: Header=BB15_4 Depth=1
	v_lshl_add_u64 v[22:23], s[12:13], 0, v[24:25]
	v_sub_co_u32_e32 v22, vcc, v22, v30
	v_mad_u64_u32 v[26:27], s[0:1], s10, v10, v[18:19]
	s_nop 0
	v_subb_co_u32_e32 v23, vcc, v23, v31, vcc
	v_mul_lo_u32 v30, s10, v11
	v_mul_lo_u32 v31, s11, v10
	v_add3_u32 v27, v31, v27, v30
	v_lshl_add_u64 v[26:27], v[26:27], 0, 2
	v_mul_lo_u32 v27, s8, v27
	v_mul_lo_u32 v30, s9, v26
	v_mad_u64_u32 v[24:25], s[0:1], s8, v26, v[24:25]
	v_add3_u32 v25, v30, v25, v27
	v_lshl_add_u64 v[26:27], s[20:21], 0, v[4:5]
	v_lshl_add_u64 v[24:25], v[26:27], 0, v[24:25]
	v_lshl_add_u64 v[24:25], v[24:25], 0, -2
	v_cmp_lt_i64_e32 vcc, -1, v[24:25]
	v_cmp_gt_i64_e64 s[0:1], s[24:25], v[24:25]
	s_and_b64 s[0:1], vcc, s[0:1]
	s_and_b64 s[0:1], s[0:1], exec
.LBB15_51:                              ;   in Loop: Header=BB15_4 Depth=1
	s_or_b64 exec, exec, s[52:53]
	s_and_b64 s[52:53], s[0:1], exec
                                        ; implicit-def: $vgpr24_vgpr25
	s_andn2_saveexec_b64 s[50:51], s[50:51]
	s_cbranch_execz .LBB15_33
.LBB15_52:                              ;   in Loop: Header=BB15_4 Depth=1
	v_sub_co_u32_e32 v22, vcc, v24, v20
	s_andn2_b64 s[52:53], s[52:53], exec
	s_nop 0
	v_subb_co_u32_e32 v23, vcc, v25, v21, vcc
	v_lshl_add_u64 v[24:25], s[20:21], 0, v[4:5]
	v_lshl_add_u64 v[22:23], v[24:25], 0, v[22:23]
	v_cmp_lt_i64_e32 vcc, -1, v[22:23]
	v_cmp_gt_i64_e64 s[0:1], s[24:25], v[22:23]
	s_and_b64 s[0:1], vcc, s[0:1]
	s_and_b64 s[0:1], s[0:1], exec
	s_or_b64 s[52:53], s[52:53], s[0:1]
	s_or_b64 exec, exec, s[50:51]
	s_and_saveexec_b64 s[0:1], s[52:53]
	s_cbranch_execnz .LBB15_34
	s_branch .LBB15_35
.LBB15_53:
	s_endpgm
	.section	.rodata,"a",@progbits
	.p2align	6, 0x0
	.amdhsa_kernel _ZN2at6native12_GLOBAL__N_140reflection_pad2d_backward_det_out_kernelIN3c107complexIdEEEEvPT_PKS6_lliiiiiii
		.amdhsa_group_segment_fixed_size 0
		.amdhsa_private_segment_fixed_size 0
		.amdhsa_kernarg_size 320
		.amdhsa_user_sgpr_count 2
		.amdhsa_user_sgpr_dispatch_ptr 0
		.amdhsa_user_sgpr_queue_ptr 0
		.amdhsa_user_sgpr_kernarg_segment_ptr 1
		.amdhsa_user_sgpr_dispatch_id 0
		.amdhsa_user_sgpr_kernarg_preload_length 0
		.amdhsa_user_sgpr_kernarg_preload_offset 0
		.amdhsa_user_sgpr_private_segment_size 0
		.amdhsa_uses_dynamic_stack 0
		.amdhsa_enable_private_segment 0
		.amdhsa_system_sgpr_workgroup_id_x 1
		.amdhsa_system_sgpr_workgroup_id_y 0
		.amdhsa_system_sgpr_workgroup_id_z 0
		.amdhsa_system_sgpr_workgroup_info 0
		.amdhsa_system_vgpr_workitem_id 0
		.amdhsa_next_free_vgpr 38
		.amdhsa_next_free_sgpr 72
		.amdhsa_accum_offset 40
		.amdhsa_reserve_vcc 1
		.amdhsa_float_round_mode_32 0
		.amdhsa_float_round_mode_16_64 0
		.amdhsa_float_denorm_mode_32 3
		.amdhsa_float_denorm_mode_16_64 3
		.amdhsa_dx10_clamp 1
		.amdhsa_ieee_mode 1
		.amdhsa_fp16_overflow 0
		.amdhsa_tg_split 0
		.amdhsa_exception_fp_ieee_invalid_op 0
		.amdhsa_exception_fp_denorm_src 0
		.amdhsa_exception_fp_ieee_div_zero 0
		.amdhsa_exception_fp_ieee_overflow 0
		.amdhsa_exception_fp_ieee_underflow 0
		.amdhsa_exception_fp_ieee_inexact 0
		.amdhsa_exception_int_div_zero 0
	.end_amdhsa_kernel
	.section	.text._ZN2at6native12_GLOBAL__N_140reflection_pad2d_backward_det_out_kernelIN3c107complexIdEEEEvPT_PKS6_lliiiiiii,"axG",@progbits,_ZN2at6native12_GLOBAL__N_140reflection_pad2d_backward_det_out_kernelIN3c107complexIdEEEEvPT_PKS6_lliiiiiii,comdat
.Lfunc_end15:
	.size	_ZN2at6native12_GLOBAL__N_140reflection_pad2d_backward_det_out_kernelIN3c107complexIdEEEEvPT_PKS6_lliiiiiii, .Lfunc_end15-_ZN2at6native12_GLOBAL__N_140reflection_pad2d_backward_det_out_kernelIN3c107complexIdEEEEvPT_PKS6_lliiiiiii
                                        ; -- End function
	.set _ZN2at6native12_GLOBAL__N_140reflection_pad2d_backward_det_out_kernelIN3c107complexIdEEEEvPT_PKS6_lliiiiiii.num_vgpr, 38
	.set _ZN2at6native12_GLOBAL__N_140reflection_pad2d_backward_det_out_kernelIN3c107complexIdEEEEvPT_PKS6_lliiiiiii.num_agpr, 0
	.set _ZN2at6native12_GLOBAL__N_140reflection_pad2d_backward_det_out_kernelIN3c107complexIdEEEEvPT_PKS6_lliiiiiii.numbered_sgpr, 72
	.set _ZN2at6native12_GLOBAL__N_140reflection_pad2d_backward_det_out_kernelIN3c107complexIdEEEEvPT_PKS6_lliiiiiii.num_named_barrier, 0
	.set _ZN2at6native12_GLOBAL__N_140reflection_pad2d_backward_det_out_kernelIN3c107complexIdEEEEvPT_PKS6_lliiiiiii.private_seg_size, 0
	.set _ZN2at6native12_GLOBAL__N_140reflection_pad2d_backward_det_out_kernelIN3c107complexIdEEEEvPT_PKS6_lliiiiiii.uses_vcc, 1
	.set _ZN2at6native12_GLOBAL__N_140reflection_pad2d_backward_det_out_kernelIN3c107complexIdEEEEvPT_PKS6_lliiiiiii.uses_flat_scratch, 0
	.set _ZN2at6native12_GLOBAL__N_140reflection_pad2d_backward_det_out_kernelIN3c107complexIdEEEEvPT_PKS6_lliiiiiii.has_dyn_sized_stack, 0
	.set _ZN2at6native12_GLOBAL__N_140reflection_pad2d_backward_det_out_kernelIN3c107complexIdEEEEvPT_PKS6_lliiiiiii.has_recursion, 0
	.set _ZN2at6native12_GLOBAL__N_140reflection_pad2d_backward_det_out_kernelIN3c107complexIdEEEEvPT_PKS6_lliiiiiii.has_indirect_call, 0
	.section	.AMDGPU.csdata,"",@progbits
; Kernel info:
; codeLenInByte = 5964
; TotalNumSgprs: 78
; NumVgprs: 38
; NumAgprs: 0
; TotalNumVgprs: 38
; ScratchSize: 0
; MemoryBound: 0
; FloatMode: 240
; IeeeMode: 1
; LDSByteSize: 0 bytes/workgroup (compile time only)
; SGPRBlocks: 9
; VGPRBlocks: 4
; NumSGPRsForWavesPerEU: 78
; NumVGPRsForWavesPerEU: 38
; AccumOffset: 40
; Occupancy: 8
; WaveLimiterHint : 0
; COMPUTE_PGM_RSRC2:SCRATCH_EN: 0
; COMPUTE_PGM_RSRC2:USER_SGPR: 2
; COMPUTE_PGM_RSRC2:TRAP_HANDLER: 0
; COMPUTE_PGM_RSRC2:TGID_X_EN: 1
; COMPUTE_PGM_RSRC2:TGID_Y_EN: 0
; COMPUTE_PGM_RSRC2:TGID_Z_EN: 0
; COMPUTE_PGM_RSRC2:TIDIG_COMP_CNT: 0
; COMPUTE_PGM_RSRC3_GFX90A:ACCUM_OFFSET: 9
; COMPUTE_PGM_RSRC3_GFX90A:TG_SPLIT: 0
	.section	.text._ZN2at6native12_GLOBAL__N_136reflection_pad2d_backward_out_kernelIN3c107complexIdEEEEvPT_PKS6_lliiiiiii,"axG",@progbits,_ZN2at6native12_GLOBAL__N_136reflection_pad2d_backward_out_kernelIN3c107complexIdEEEEvPT_PKS6_lliiiiiii,comdat
	.globl	_ZN2at6native12_GLOBAL__N_136reflection_pad2d_backward_out_kernelIN3c107complexIdEEEEvPT_PKS6_lliiiiiii ; -- Begin function _ZN2at6native12_GLOBAL__N_136reflection_pad2d_backward_out_kernelIN3c107complexIdEEEEvPT_PKS6_lliiiiiii
	.p2align	8
	.type	_ZN2at6native12_GLOBAL__N_136reflection_pad2d_backward_out_kernelIN3c107complexIdEEEEvPT_PKS6_lliiiiiii,@function
_ZN2at6native12_GLOBAL__N_136reflection_pad2d_backward_out_kernelIN3c107complexIdEEEEvPT_PKS6_lliiiiiii: ; @_ZN2at6native12_GLOBAL__N_136reflection_pad2d_backward_out_kernelIN3c107complexIdEEEEvPT_PKS6_lliiiiiii
; %bb.0:
	s_load_dword s5, s[0:1], 0x4c
	s_load_dwordx4 s[16:19], s[0:1], 0x20
	s_load_dwordx8 s[8:15], s[0:1], 0x0
	v_mov_b32_e32 v1, 0
	s_waitcnt lgkmcnt(0)
	s_and_b32 s5, s5, 0xffff
	s_ashr_i32 s7, s18, 31
	s_mul_i32 s2, s2, s5
	s_add_u32 s5, s12, s18
	v_add_u32_e32 v0, s2, v0
	s_addc_u32 s30, s13, s7
	s_ashr_i32 s2, s19, 31
	s_add_u32 s34, s5, s19
	s_addc_u32 s23, s30, s2
	s_ashr_i32 s21, s16, 31
	s_add_u32 s31, s14, s16
	;; [unrolled: 3-line block ×3, first 2 shown]
	s_addc_u32 s36, s33, s2
	s_mov_b32 s20, s16
	s_mul_i32 s2, s34, s36
	s_mul_hi_u32 s16, s34, s35
	s_add_i32 s2, s16, s2
	s_mul_i32 s16, s23, s35
	s_add_i32 s17, s2, s16
	s_mul_i32 s16, s34, s35
	v_cmp_gt_i64_e32 vcc, s[16:17], v[0:1]
	s_and_saveexec_b64 s[16:17], vcc
	s_cbranch_execz .LBB16_5
; %bb.1:
	s_mov_b32 s6, s18
	s_load_dwordx4 s[16:19], s[0:1], 0x30
	s_mov_b32 s22, 0
	s_cmp_lg_u64 s[22:23], 0
	s_cbranch_scc0 .LBB16_6
; %bb.2:
	s_ashr_i32 s24, s23, 31
	s_add_u32 s0, s34, s24
	s_mov_b32 s25, s24
	s_addc_u32 s1, s23, s24
	s_xor_b64 s[28:29], s[0:1], s[24:25]
	v_cvt_f32_u32_e32 v2, s28
	v_cvt_f32_u32_e32 v3, s29
	s_sub_u32 s2, 0, s28
	s_waitcnt lgkmcnt(0)
	s_subb_u32 s19, 0, s29
	v_lshl_add_u64 v[4:5], v[0:1], 0, 0
	v_fmamk_f32 v2, v3, 0x4f800000, v2
	v_rcp_f32_e32 v2, v2
	s_nop 0
	v_mul_f32_e32 v2, 0x5f7ffffc, v2
	v_mul_f32_e32 v3, 0x2f800000, v2
	v_trunc_f32_e32 v3, v3
	v_fmamk_f32 v2, v3, 0xcf800000, v2
	v_cvt_u32_f32_e32 v3, v3
	v_cvt_u32_f32_e32 v2, v2
	v_readfirstlane_b32 s22, v3
	v_readfirstlane_b32 s0, v2
	s_mul_i32 s1, s2, s22
	s_mul_hi_u32 s37, s2, s0
	s_mul_i32 s25, s19, s0
	s_add_i32 s1, s37, s1
	s_add_i32 s1, s1, s25
	s_mul_i32 s38, s2, s0
	s_mul_i32 s37, s0, s1
	s_mul_hi_u32 s39, s0, s38
	s_mul_hi_u32 s25, s0, s1
	s_add_u32 s37, s39, s37
	s_addc_u32 s25, 0, s25
	s_mul_hi_u32 s40, s22, s38
	s_mul_i32 s38, s22, s38
	s_add_u32 s37, s37, s38
	s_mul_hi_u32 s39, s22, s1
	s_addc_u32 s25, s25, s40
	s_addc_u32 s37, s39, 0
	s_mul_i32 s1, s22, s1
	s_add_u32 s1, s25, s1
	s_addc_u32 s25, 0, s37
	s_add_u32 s37, s0, s1
	s_cselect_b64 s[0:1], -1, 0
	s_cmp_lg_u64 s[0:1], 0
	s_addc_u32 s22, s22, s25
	s_mul_i32 s0, s2, s22
	s_mul_hi_u32 s1, s2, s37
	s_add_i32 s0, s1, s0
	s_mul_i32 s19, s19, s37
	s_add_i32 s0, s0, s19
	s_mul_i32 s2, s2, s37
	s_mul_hi_u32 s19, s22, s2
	s_mul_i32 s25, s22, s2
	s_mul_i32 s39, s37, s0
	s_mul_hi_u32 s2, s37, s2
	s_mul_hi_u32 s38, s37, s0
	s_add_u32 s2, s2, s39
	s_addc_u32 s38, 0, s38
	s_add_u32 s2, s2, s25
	s_mul_hi_u32 s1, s22, s0
	s_addc_u32 s2, s38, s19
	s_addc_u32 s1, s1, 0
	s_mul_i32 s0, s22, s0
	s_add_u32 s0, s2, s0
	s_addc_u32 s2, 0, s1
	s_add_u32 s19, s37, s0
	s_cselect_b64 s[0:1], -1, 0
	s_cmp_lg_u64 s[0:1], 0
	s_addc_u32 s2, s22, s2
	v_mov_b32_e32 v3, 0
	v_mad_u64_u32 v[6:7], s[0:1], v4, s2, 0
	v_mul_hi_u32 v2, v4, s19
	v_lshl_add_u64 v[6:7], v[2:3], 0, v[6:7]
	v_mad_u64_u32 v[10:11], s[0:1], v5, s19, 0
	v_add_co_u32_e32 v1, vcc, v6, v10
	v_mad_u64_u32 v[8:9], s[0:1], v5, s2, 0
	s_nop 0
	v_addc_co_u32_e32 v2, vcc, v7, v11, vcc
	s_nop 1
	v_addc_co_u32_e32 v9, vcc, 0, v9, vcc
	v_lshl_add_u64 v[2:3], v[2:3], 0, v[8:9]
	v_mul_lo_u32 v1, s29, v2
	v_mul_lo_u32 v8, s28, v3
	v_mad_u64_u32 v[6:7], s[0:1], s28, v2, 0
	v_add3_u32 v1, v7, v8, v1
	v_sub_u32_e32 v7, v5, v1
	v_mov_b32_e32 v8, s29
	v_sub_co_u32_e32 v4, vcc, v4, v6
	s_nop 1
	v_subb_co_u32_e64 v6, s[0:1], v7, v8, vcc
	v_subrev_co_u32_e64 v7, s[0:1], s28, v4
	v_subb_co_u32_e32 v1, vcc, v5, v1, vcc
	s_nop 0
	v_subbrev_co_u32_e64 v6, s[0:1], 0, v6, s[0:1]
	v_cmp_le_u32_e64 s[0:1], s29, v6
	v_cmp_le_u32_e32 vcc, s29, v1
	s_nop 0
	v_cndmask_b32_e64 v8, 0, -1, s[0:1]
	v_cmp_le_u32_e64 s[0:1], s28, v7
	v_cndmask_b32_e64 v5, 0, -1, vcc
	v_cmp_le_u32_e32 vcc, s28, v4
	v_cndmask_b32_e64 v7, 0, -1, s[0:1]
	v_cmp_eq_u32_e64 s[0:1], s29, v6
	v_cndmask_b32_e64 v4, 0, -1, vcc
	v_cmp_eq_u32_e32 vcc, s29, v1
	v_cndmask_b32_e64 v10, v8, v7, s[0:1]
	v_lshl_add_u64 v[6:7], v[2:3], 0, 2
	v_lshl_add_u64 v[8:9], v[2:3], 0, 1
	v_cmp_ne_u32_e64 s[0:1], 0, v10
	v_cndmask_b32_e32 v1, v5, v4, vcc
	v_cmp_ne_u32_e32 vcc, 0, v1
	v_cndmask_b32_e64 v7, v9, v7, s[0:1]
	s_nop 0
	v_cndmask_b32_e32 v1, v3, v7, vcc
	v_cndmask_b32_e64 v3, v8, v6, s[0:1]
	v_cndmask_b32_e32 v2, v2, v3, vcc
	v_xor_b32_e32 v2, s24, v2
	v_xor_b32_e32 v1, s24, v1
	v_mov_b32_e32 v3, s24
	v_subrev_co_u32_e32 v2, vcc, s24, v2
	s_nop 1
	v_subb_co_u32_e32 v3, vcc, v1, v3, vcc
	s_cbranch_execnz .LBB16_4
.LBB16_3:
	v_cvt_f32_u32_e32 v1, s34
	s_sub_i32 s0, 0, s34
	v_rcp_iflag_f32_e32 v1, v1
	s_nop 0
	v_mul_f32_e32 v1, 0x4f7ffffe, v1
	v_cvt_u32_f32_e32 v1, v1
	v_mul_lo_u32 v2, s0, v1
	v_mul_hi_u32 v2, v1, v2
	v_add_u32_e32 v1, v1, v2
	v_mul_hi_u32 v1, v0, v1
	v_mul_lo_u32 v2, v1, s34
	v_sub_u32_e32 v2, v0, v2
	v_add_u32_e32 v3, 1, v1
	v_subrev_u32_e32 v4, s34, v2
	v_cmp_le_u32_e32 vcc, s34, v2
	s_nop 1
	v_cndmask_b32_e32 v2, v2, v4, vcc
	v_cndmask_b32_e32 v1, v1, v3, vcc
	v_add_u32_e32 v3, 1, v1
	v_cmp_le_u32_e32 vcc, s34, v2
	s_nop 1
	v_cndmask_b32_e32 v2, v1, v3, vcc
	v_mov_b32_e32 v3, 0
.LBB16_4:
	s_sub_u32 s0, 0, s20
	s_subb_u32 s1, 0, s21
	s_sub_u32 s24, 0, s6
	s_subb_u32 s25, 0, s7
	s_waitcnt lgkmcnt(0)
	s_add_i32 s2, s16, s3
	s_add_i32 s3, s17, s4
	s_mul_i32 s3, s3, s18
	s_add_i32 s4, s2, s3
	s_mul_i32 s2, s15, s4
	s_mul_hi_u32 s3, s14, s4
	s_add_i32 s15, s3, s2
	v_mul_lo_u32 v1, v3, s34
	v_mul_lo_u32 v10, v2, s23
	v_mad_u64_u32 v[8:9], s[2:3], v2, s34, 0
	v_add3_u32 v1, v9, v10, v1
	v_sub_co_u32_e32 v0, vcc, v0, v8
	v_mov_b32_e32 v8, s7
	s_nop 0
	v_subb_co_u32_e32 v1, vcc, 0, v1, vcc
	v_subrev_co_u32_e32 v9, vcc, s6, v0
	v_mov_b32_e32 v4, s8
	s_nop 0
	v_subb_co_u32_e32 v8, vcc, v1, v8, vcc
	v_ashrrev_i32_e32 v11, 31, v8
	v_xor_b32_e32 v12, v8, v11
	v_mov_b32_e32 v8, s4
	v_mov_b32_e32 v5, s9
	v_xor_b32_e32 v10, v9, v11
	s_mul_i32 s36, s36, s4
	v_mad_u64_u32 v[8:9], s[8:9], s35, v8, v[2:3]
	v_add_u32_e32 v9, s36, v9
	v_mul_lo_u32 v13, v9, s34
	v_mul_lo_u32 v14, v8, s23
	v_mad_u64_u32 v[8:9], s[8:9], v8, s34, 0
	v_mov_b32_e32 v6, s10
	v_mov_b32_e32 v7, s11
	v_add3_u32 v9, v9, v14, v13
	v_lshl_add_u64 v[6:7], v[8:9], 4, v[6:7]
	v_lshl_add_u64 v[6:7], v[0:1], 4, v[6:7]
	global_load_dwordx4 v[6:9], v[6:7], off
	v_sub_co_u32_e32 v10, vcc, v10, v11
	v_mov_b32_e32 v13, s30
	s_nop 0
	v_subb_co_u32_e32 v11, vcc, v12, v11, vcc
	v_subrev_co_u32_e32 v12, vcc, s5, v0
	v_cmp_gt_i64_e64 s[2:3], s[24:25], 0
	s_nop 0
	v_subb_co_u32_e32 v13, vcc, v1, v13, vcc
	v_lshl_add_u64 v[12:13], v[12:13], 0, 1
	v_ashrrev_i32_e32 v14, 31, v13
	v_xor_b32_e32 v12, v12, v14
	s_and_b64 s[2:3], s[2:3], exec
	v_xor_b32_e32 v13, v13, v14
	v_sub_co_u32_e32 v12, vcc, v12, v14
	v_cmp_gt_i64_e64 s[2:3], s[0:1], 0
	s_nop 0
	v_subb_co_u32_e32 v13, vcc, v13, v14, vcc
	s_cselect_b32 s10, s25, 0
	s_cselect_b32 s11, s24, 0
	s_and_b64 s[2:3], s[2:3], exec
	v_mov_b32_e32 v14, s21
	v_subrev_co_u32_e32 v15, vcc, s20, v2
	s_cselect_b32 s16, s1, 0
	s_cselect_b32 s17, s0, 0
	v_cmp_gt_i64_e64 s[0:1], s[6:7], 0
	v_subb_co_u32_e32 v14, vcc, v3, v14, vcc
	s_and_b64 s[0:1], s[0:1], exec
	v_cmp_gt_i64_e64 s[2:3], s[20:21], 0
	v_ashrrev_i32_e32 v16, 31, v14
	s_cselect_b32 s1, s7, 0
	s_cselect_b32 s0, s6, 0
	s_and_b64 s[2:3], s[2:3], exec
	v_xor_b32_e32 v17, v14, v16
	v_xor_b32_e32 v14, v15, v16
	s_cselect_b32 s3, s21, 0
	s_cselect_b32 s2, s20, 0
	v_sub_co_u32_e32 v14, vcc, v14, v16
	s_not_b64 s[2:3], s[2:3]
	s_nop 0
	v_subb_co_u32_e32 v15, vcc, v17, v16, vcc
	s_mul_i32 s14, s14, s4
	v_mov_b32_e32 v17, s33
	v_subrev_co_u32_e32 v16, vcc, s31, v2
	s_add_u32 s4, s31, s20
	s_nop 0
	v_subb_co_u32_e32 v17, vcc, v3, v17, vcc
	s_addc_u32 s8, s33, s21
	v_lshl_add_u64 v[16:17], v[16:17], 0, 1
	s_add_u32 s2, s4, s2
	v_ashrrev_i32_e32 v18, 31, v17
	s_addc_u32 s3, s8, s3
	v_xor_b32_e32 v16, v16, v18
	s_add_u32 s2, s2, s17
	v_xor_b32_e32 v17, v17, v18
	v_sub_co_u32_e32 v16, vcc, v16, v18
	s_addc_u32 s3, s3, s16
	s_nop 0
	v_subb_co_u32_e32 v17, vcc, v17, v18, vcc
	s_add_u32 s2, s2, s14
	s_addc_u32 s3, s3, s15
	v_lshl_add_u64 v[2:3], v[2:3], 0, v[16:17]
	v_mov_b32_e32 v16, s3
	v_sub_co_u32_e32 v2, vcc, s2, v2
	v_lshl_add_u64 v[0:1], v[0:1], 0, v[12:13]
	s_nop 0
	v_subb_co_u32_e32 v3, vcc, v16, v3, vcc
	v_lshl_add_u64 v[2:3], v[2:3], 0, v[14:15]
	v_mul_lo_u32 v14, v3, s12
	v_mul_lo_u32 v15, v2, s13
	v_mad_u64_u32 v[2:3], s[2:3], v2, s12, 0
	s_add_u32 s2, s5, s6
	s_addc_u32 s3, s30, s7
	s_not_b64 s[0:1], s[0:1]
	s_add_u32 s0, s2, s0
	s_addc_u32 s1, s3, s1
	s_add_u32 s0, s0, s11
	s_addc_u32 s1, s1, s10
	v_mov_b32_e32 v12, s1
	v_sub_co_u32_e32 v0, vcc, s0, v0
	v_add3_u32 v3, v3, v15, v14
	s_nop 0
	v_subb_co_u32_e32 v1, vcc, v12, v1, vcc
	v_lshl_add_u64 v[0:1], v[0:1], 4, v[4:5]
	v_lshl_add_u64 v[0:1], v[10:11], 4, v[0:1]
	;; [unrolled: 1-line block ×3, first 2 shown]
	s_waitcnt vmcnt(0)
	global_atomic_add_f64 v[0:1], v[6:7], off
	global_atomic_add_f64 v[0:1], v[8:9], off offset:8
.LBB16_5:
	s_endpgm
.LBB16_6:
                                        ; implicit-def: $vgpr2_vgpr3
	s_branch .LBB16_3
	.section	.rodata,"a",@progbits
	.p2align	6, 0x0
	.amdhsa_kernel _ZN2at6native12_GLOBAL__N_136reflection_pad2d_backward_out_kernelIN3c107complexIdEEEEvPT_PKS6_lliiiiiii
		.amdhsa_group_segment_fixed_size 0
		.amdhsa_private_segment_fixed_size 0
		.amdhsa_kernarg_size 320
		.amdhsa_user_sgpr_count 2
		.amdhsa_user_sgpr_dispatch_ptr 0
		.amdhsa_user_sgpr_queue_ptr 0
		.amdhsa_user_sgpr_kernarg_segment_ptr 1
		.amdhsa_user_sgpr_dispatch_id 0
		.amdhsa_user_sgpr_kernarg_preload_length 0
		.amdhsa_user_sgpr_kernarg_preload_offset 0
		.amdhsa_user_sgpr_private_segment_size 0
		.amdhsa_uses_dynamic_stack 0
		.amdhsa_enable_private_segment 0
		.amdhsa_system_sgpr_workgroup_id_x 1
		.amdhsa_system_sgpr_workgroup_id_y 1
		.amdhsa_system_sgpr_workgroup_id_z 1
		.amdhsa_system_sgpr_workgroup_info 0
		.amdhsa_system_vgpr_workitem_id 0
		.amdhsa_next_free_vgpr 19
		.amdhsa_next_free_sgpr 41
		.amdhsa_accum_offset 20
		.amdhsa_reserve_vcc 1
		.amdhsa_float_round_mode_32 0
		.amdhsa_float_round_mode_16_64 0
		.amdhsa_float_denorm_mode_32 3
		.amdhsa_float_denorm_mode_16_64 3
		.amdhsa_dx10_clamp 1
		.amdhsa_ieee_mode 1
		.amdhsa_fp16_overflow 0
		.amdhsa_tg_split 0
		.amdhsa_exception_fp_ieee_invalid_op 0
		.amdhsa_exception_fp_denorm_src 0
		.amdhsa_exception_fp_ieee_div_zero 0
		.amdhsa_exception_fp_ieee_overflow 0
		.amdhsa_exception_fp_ieee_underflow 0
		.amdhsa_exception_fp_ieee_inexact 0
		.amdhsa_exception_int_div_zero 0
	.end_amdhsa_kernel
	.section	.text._ZN2at6native12_GLOBAL__N_136reflection_pad2d_backward_out_kernelIN3c107complexIdEEEEvPT_PKS6_lliiiiiii,"axG",@progbits,_ZN2at6native12_GLOBAL__N_136reflection_pad2d_backward_out_kernelIN3c107complexIdEEEEvPT_PKS6_lliiiiiii,comdat
.Lfunc_end16:
	.size	_ZN2at6native12_GLOBAL__N_136reflection_pad2d_backward_out_kernelIN3c107complexIdEEEEvPT_PKS6_lliiiiiii, .Lfunc_end16-_ZN2at6native12_GLOBAL__N_136reflection_pad2d_backward_out_kernelIN3c107complexIdEEEEvPT_PKS6_lliiiiiii
                                        ; -- End function
	.set _ZN2at6native12_GLOBAL__N_136reflection_pad2d_backward_out_kernelIN3c107complexIdEEEEvPT_PKS6_lliiiiiii.num_vgpr, 19
	.set _ZN2at6native12_GLOBAL__N_136reflection_pad2d_backward_out_kernelIN3c107complexIdEEEEvPT_PKS6_lliiiiiii.num_agpr, 0
	.set _ZN2at6native12_GLOBAL__N_136reflection_pad2d_backward_out_kernelIN3c107complexIdEEEEvPT_PKS6_lliiiiiii.numbered_sgpr, 41
	.set _ZN2at6native12_GLOBAL__N_136reflection_pad2d_backward_out_kernelIN3c107complexIdEEEEvPT_PKS6_lliiiiiii.num_named_barrier, 0
	.set _ZN2at6native12_GLOBAL__N_136reflection_pad2d_backward_out_kernelIN3c107complexIdEEEEvPT_PKS6_lliiiiiii.private_seg_size, 0
	.set _ZN2at6native12_GLOBAL__N_136reflection_pad2d_backward_out_kernelIN3c107complexIdEEEEvPT_PKS6_lliiiiiii.uses_vcc, 1
	.set _ZN2at6native12_GLOBAL__N_136reflection_pad2d_backward_out_kernelIN3c107complexIdEEEEvPT_PKS6_lliiiiiii.uses_flat_scratch, 0
	.set _ZN2at6native12_GLOBAL__N_136reflection_pad2d_backward_out_kernelIN3c107complexIdEEEEvPT_PKS6_lliiiiiii.has_dyn_sized_stack, 0
	.set _ZN2at6native12_GLOBAL__N_136reflection_pad2d_backward_out_kernelIN3c107complexIdEEEEvPT_PKS6_lliiiiiii.has_recursion, 0
	.set _ZN2at6native12_GLOBAL__N_136reflection_pad2d_backward_out_kernelIN3c107complexIdEEEEvPT_PKS6_lliiiiiii.has_indirect_call, 0
	.section	.AMDGPU.csdata,"",@progbits
; Kernel info:
; codeLenInByte = 1536
; TotalNumSgprs: 47
; NumVgprs: 19
; NumAgprs: 0
; TotalNumVgprs: 19
; ScratchSize: 0
; MemoryBound: 0
; FloatMode: 240
; IeeeMode: 1
; LDSByteSize: 0 bytes/workgroup (compile time only)
; SGPRBlocks: 5
; VGPRBlocks: 2
; NumSGPRsForWavesPerEU: 47
; NumVGPRsForWavesPerEU: 19
; AccumOffset: 20
; Occupancy: 8
; WaveLimiterHint : 0
; COMPUTE_PGM_RSRC2:SCRATCH_EN: 0
; COMPUTE_PGM_RSRC2:USER_SGPR: 2
; COMPUTE_PGM_RSRC2:TRAP_HANDLER: 0
; COMPUTE_PGM_RSRC2:TGID_X_EN: 1
; COMPUTE_PGM_RSRC2:TGID_Y_EN: 1
; COMPUTE_PGM_RSRC2:TGID_Z_EN: 1
; COMPUTE_PGM_RSRC2:TIDIG_COMP_CNT: 0
; COMPUTE_PGM_RSRC3_GFX90A:ACCUM_OFFSET: 4
; COMPUTE_PGM_RSRC3_GFX90A:TG_SPLIT: 0
	.section	.text._ZN2at6native12_GLOBAL__N_140reflection_pad2d_backward_det_out_kernelIN3c107complexIfEEEEvPT_PKS6_lliiiiiii,"axG",@progbits,_ZN2at6native12_GLOBAL__N_140reflection_pad2d_backward_det_out_kernelIN3c107complexIfEEEEvPT_PKS6_lliiiiiii,comdat
	.globl	_ZN2at6native12_GLOBAL__N_140reflection_pad2d_backward_det_out_kernelIN3c107complexIfEEEEvPT_PKS6_lliiiiiii ; -- Begin function _ZN2at6native12_GLOBAL__N_140reflection_pad2d_backward_det_out_kernelIN3c107complexIfEEEEvPT_PKS6_lliiiiiii
	.p2align	8
	.type	_ZN2at6native12_GLOBAL__N_140reflection_pad2d_backward_det_out_kernelIN3c107complexIfEEEEvPT_PKS6_lliiiiiii,@function
_ZN2at6native12_GLOBAL__N_140reflection_pad2d_backward_det_out_kernelIN3c107complexIfEEEEvPT_PKS6_lliiiiiii: ; @_ZN2at6native12_GLOBAL__N_140reflection_pad2d_backward_det_out_kernelIN3c107complexIfEEEEvPT_PKS6_lliiiiiii
; %bb.0:
	s_load_dword s3, s[0:1], 0x4c
	s_load_dwordx2 s[12:13], s[0:1], 0x30
	s_load_dwordx8 s[4:11], s[0:1], 0x0
	s_add_u32 s20, s0, 64
	s_addc_u32 s21, s1, 0
	s_waitcnt lgkmcnt(0)
	s_and_b32 s3, s3, 0xffff
	s_mul_i32 s2, s2, s3
	s_mul_i32 s14, s10, s9
	s_mul_hi_u32 s15, s10, s8
	v_add_u32_e32 v0, s2, v0
	s_ashr_i32 s2, s12, 31
	s_add_i32 s33, s15, s14
	s_mul_i32 s14, s11, s8
	s_mul_i32 s54, s10, s8
	s_add_i32 s33, s33, s14
	s_mul_i32 s2, s54, s2
	s_mul_hi_u32 s15, s54, s12
	s_ashr_i32 s17, s13, 31
	s_mul_i32 s14, s33, s12
	s_add_i32 s2, s15, s2
	s_mul_i32 s12, s54, s12
	s_add_i32 s2, s2, s14
	s_mul_i32 s14, s12, s17
	s_mul_hi_u32 s15, s12, s13
	v_mov_b32_e32 v2, 0
	s_mul_i32 s2, s2, s13
	s_add_i32 s14, s15, s14
	v_mov_b32_e32 v1, v2
	s_add_i32 s19, s14, s2
	s_mul_i32 s18, s12, s13
	s_mov_b32 s16, s13
	v_cmp_gt_i64_e32 vcc, s[18:19], v[0:1]
	s_and_saveexec_b64 s[12:13], vcc
	s_cbranch_execz .LBB17_53
; %bb.1:
	s_load_dwordx4 s[12:15], s[0:1], 0x20
	s_load_dword s2, s[20:21], 0x0
	s_mul_i32 s58, s54, s16
	v_cvt_f32_u32_e32 v3, s58
	v_sub_co_u32_e32 v4, vcc, 0, v0
	s_waitcnt lgkmcnt(0)
	s_ashr_i32 s21, s14, 31
	s_add_u32 s30, s8, s14
	s_addc_u32 s31, s9, s21
	s_ashr_i32 s1, s15, 31
	s_add_u32 s55, s30, s15
	s_addc_u32 s56, s31, s1
	s_ashr_i32 s23, s12, 31
	s_mov_b32 s0, s15
	s_add_u32 s15, s10, s12
	s_addc_u32 s24, s11, s23
	s_ashr_i32 s35, s13, 31
	s_mov_b32 s34, s13
	s_add_u32 s13, s15, s13
	s_addc_u32 s15, s24, s35
	s_mul_i32 s15, s55, s15
	s_mul_hi_u32 s24, s55, s13
	s_add_i32 s15, s24, s15
	s_mul_i32 s24, s56, s13
	s_add_i32 s25, s15, s24
	s_add_u32 s28, s8, -1
	s_addc_u32 s29, s9, -1
	s_mul_i32 s24, s55, s13
	s_mul_hi_u32 s27, s3, s2
	s_mul_i32 s26, s3, s2
	s_add_u32 s13, s30, s28
	s_mul_i32 s2, s54, s17
	s_mul_hi_u32 s3, s54, s16
	s_addc_u32 s15, s31, s29
	s_add_i32 s2, s3, s2
	s_mul_i32 s3, s33, s16
	s_add_i32 s57, s2, s3
	s_add_u32 s30, s10, -1
	s_addc_u32 s31, s11, -1
	s_not_b64 s[2:3], s[34:35]
	s_add_u32 s34, s10, s2
	s_addc_u32 s35, s11, s3
	s_not_b64 s[0:1], s[0:1]
	s_add_u32 s36, s8, s0
	s_addc_u32 s37, s9, s1
	s_mul_i32 s0, s24, s17
	s_mul_hi_u32 s1, s24, s16
	s_add_i32 s0, s1, s0
	s_mul_i32 s1, s25, s16
	s_add_i32 s59, s0, s1
	s_add_u32 s61, s13, -1
	s_addc_u32 s62, s15, -1
	s_lshl_b64 s[0:1], s[30:31], 1
	s_add_u32 s63, s0, s12
	s_addc_u32 s64, s1, s23
	s_lshl_b64 s[0:1], s[28:29], 1
	v_rcp_iflag_f32_e32 v3, v3
	s_mov_b32 s22, s12
	s_add_u32 s12, s0, s14
	s_addc_u32 s13, s1, s21
	s_mov_b32 s20, s14
	s_sub_u32 s65, 0, s10
	v_subb_co_u32_e64 v5, s[0:1], 0, 0, vcc
	s_subb_u32 s66, 0, s11
	s_lshl_b64 s[38:39], s[16:17], 3
	s_lshl_b64 s[40:41], s[8:9], 3
	;; [unrolled: 1-line block ×3, first 2 shown]
	v_mul_f32_e32 v3, 0x4f7ffffe, v3
	s_add_u32 s42, s6, s0
	v_cvt_u32_f32_e32 v26, v3
	s_addc_u32 s43, s7, s1
	s_lshl_b64 s[44:45], s[26:27], 3
	s_sub_u32 s67, 0, s54
	s_mul_i32 s60, s24, s16
	s_mov_b64 s[14:15], 0
	v_lshlrev_b64 v[6:7], 3, v[0:1]
	s_subb_u32 s68, 0, s33
	s_branch .LBB17_4
.LBB17_2:                               ;   in Loop: Header=BB17_4 Depth=1
	s_or_b64 exec, exec, s[0:1]
.LBB17_3:                               ;   in Loop: Header=BB17_4 Depth=1
	s_or_b64 exec, exec, s[46:47]
	v_lshlrev_b64 v[10:11], 3, v[12:13]
	v_mul_lo_u32 v3, s38, v9
	v_mul_lo_u32 v12, s39, v8
	v_mad_u64_u32 v[8:9], s[0:1], s38, v8, v[10:11]
	v_add3_u32 v3, v12, v9, v3
	v_mul_lo_u32 v9, s41, v27
	v_mul_lo_u32 v12, s40, v28
	v_mad_u64_u32 v[10:11], s[0:1], s40, v27, 0
	v_add3_u32 v11, v11, v12, v9
	v_mul_lo_u32 v3, s24, v3
	v_mad_u64_u32 v[10:11], s[0:1], s24, v8, v[10:11]
	v_mul_lo_u32 v8, s25, v8
	v_add3_u32 v11, v8, v11, v3
	v_lshl_add_u64 v[8:9], v[20:21], 3, v[10:11]
	v_lshl_add_u64 v[8:9], v[6:7], 0, v[8:9]
	;; [unrolled: 1-line block ×4, first 2 shown]
	global_load_dwordx2 v[8:9], v[8:9], off
	s_nop 0
	global_load_dwordx2 v[12:13], v[10:11], off
	v_mov_b32_e32 v3, s27
	v_subrev_co_u32_e32 v4, vcc, s26, v4
	v_lshl_add_u64 v[0:1], v[0:1], 0, s[26:27]
	s_nop 0
	v_subb_co_u32_e32 v5, vcc, v5, v3, vcc
	v_cmp_le_i64_e32 vcc, s[18:19], v[0:1]
	s_or_b64 s[14:15], vcc, s[14:15]
	v_lshl_add_u64 v[6:7], v[6:7], 0, s[44:45]
	s_waitcnt vmcnt(1)
	v_pk_add_f32 v[8:9], v[16:17], v[8:9]
	s_waitcnt vmcnt(0)
	v_pk_add_f32 v[8:9], v[8:9], v[12:13]
	global_store_dwordx2 v[10:11], v[8:9], off
	s_andn2_b64 exec, exec, s[14:15]
	s_cbranch_execz .LBB17_53
.LBB17_4:                               ; =>This Inner Loop Header: Depth=1
	v_or_b32_e32 v3, s57, v1
	v_cmp_ne_u64_e32 vcc, 0, v[2:3]
	v_ashrrev_i32_e32 v12, 31, v1
                                        ; implicit-def: $vgpr8_vgpr9
	s_and_saveexec_b64 s[0:1], vcc
	s_xor_b64 s[2:3], exec, s[0:1]
	s_cbranch_execz .LBB17_6
; %bb.5:                                ;   in Loop: Header=BB17_4 Depth=1
	s_ashr_i32 s46, s57, 31
	s_add_u32 s0, s58, s46
	s_mov_b32 s47, s46
	s_addc_u32 s1, s57, s46
	s_xor_b64 s[48:49], s[0:1], s[46:47]
	v_cvt_f32_u32_e32 v3, s48
	v_cvt_f32_u32_e32 v8, s49
	s_sub_u32 s47, 0, s48
	s_subb_u32 s50, 0, s49
	v_mov_b32_e32 v13, v12
	v_fmac_f32_e32 v3, 0x4f800000, v8
	v_rcp_f32_e32 v3, v3
	v_mov_b32_e32 v11, v2
	v_mul_f32_e32 v3, 0x5f7ffffc, v3
	v_mul_f32_e32 v8, 0x2f800000, v3
	v_trunc_f32_e32 v8, v8
	v_fmac_f32_e32 v3, 0xcf800000, v8
	v_cvt_u32_f32_e32 v8, v8
	v_cvt_u32_f32_e32 v3, v3
	v_readfirstlane_b32 s51, v8
	v_readfirstlane_b32 s0, v3
	s_mul_i32 s1, s47, s51
	s_mul_hi_u32 s53, s47, s0
	s_mul_i32 s52, s50, s0
	s_add_i32 s1, s53, s1
	s_add_i32 s1, s1, s52
	s_mul_i32 s69, s47, s0
	s_mul_i32 s53, s0, s1
	s_mul_hi_u32 s70, s0, s69
	s_mul_hi_u32 s52, s0, s1
	s_add_u32 s53, s70, s53
	s_addc_u32 s52, 0, s52
	s_mul_hi_u32 s71, s51, s69
	s_mul_i32 s69, s51, s69
	s_add_u32 s53, s53, s69
	s_mul_hi_u32 s70, s51, s1
	s_addc_u32 s52, s52, s71
	s_addc_u32 s53, s70, 0
	s_mul_i32 s1, s51, s1
	s_add_u32 s1, s52, s1
	s_addc_u32 s52, 0, s53
	s_add_u32 s53, s0, s1
	s_cselect_b64 s[0:1], -1, 0
	s_cmp_lg_u64 s[0:1], 0
	s_addc_u32 s51, s51, s52
	s_mul_i32 s0, s47, s51
	s_mul_hi_u32 s1, s47, s53
	s_add_i32 s0, s1, s0
	s_mul_i32 s50, s50, s53
	s_add_i32 s0, s0, s50
	s_mul_i32 s47, s47, s53
	s_mul_hi_u32 s50, s51, s47
	s_mul_i32 s52, s51, s47
	s_mul_i32 s70, s53, s0
	s_mul_hi_u32 s47, s53, s47
	s_mul_hi_u32 s69, s53, s0
	s_add_u32 s47, s47, s70
	s_addc_u32 s69, 0, s69
	s_add_u32 s47, s47, s52
	s_mul_hi_u32 s1, s51, s0
	s_addc_u32 s47, s69, s50
	s_addc_u32 s1, s1, 0
	s_mul_i32 s0, s51, s0
	s_add_u32 s0, s47, s0
	s_addc_u32 s47, 0, s1
	s_add_u32 s50, s53, s0
	s_cselect_b64 s[0:1], -1, 0
	s_cmp_lg_u64 s[0:1], 0
	v_lshl_add_u64 v[8:9], v[0:1], 0, v[12:13]
	s_addc_u32 s47, s51, s47
	v_xor_b32_e32 v13, v8, v12
	v_xor_b32_e32 v3, v9, v12
	v_mad_u64_u32 v[8:9], s[0:1], v13, s47, 0
	v_mul_hi_u32 v10, v13, s50
	v_lshl_add_u64 v[8:9], v[10:11], 0, v[8:9]
	v_mad_u64_u32 v[14:15], s[0:1], v3, s50, 0
	v_add_co_u32_e32 v8, vcc, v8, v14
	v_mad_u64_u32 v[10:11], s[0:1], v3, s47, 0
	s_nop 0
	v_addc_co_u32_e32 v8, vcc, v9, v15, vcc
	v_mov_b32_e32 v9, v2
	s_nop 0
	v_addc_co_u32_e32 v11, vcc, 0, v11, vcc
	v_lshl_add_u64 v[8:9], v[8:9], 0, v[10:11]
	v_mul_lo_u32 v14, s49, v8
	v_mul_lo_u32 v15, s48, v9
	v_mad_u64_u32 v[10:11], s[0:1], s48, v8, 0
	v_add3_u32 v16, v11, v15, v14
	v_sub_u32_e32 v11, v3, v16
	v_mov_b32_e32 v14, s49
	v_sub_co_u32_e32 v13, vcc, v13, v10
	s_nop 1
	v_subb_co_u32_e64 v10, s[0:1], v11, v14, vcc
	v_subrev_co_u32_e64 v11, s[0:1], s48, v13
	v_subb_co_u32_e32 v3, vcc, v3, v16, vcc
	s_nop 0
	v_subbrev_co_u32_e64 v10, s[0:1], 0, v10, s[0:1]
	v_cmp_le_u32_e64 s[0:1], s49, v10
	v_cmp_le_u32_e32 vcc, s49, v3
	s_nop 0
	v_cndmask_b32_e64 v14, 0, -1, s[0:1]
	v_cmp_le_u32_e64 s[0:1], s48, v11
	s_nop 1
	v_cndmask_b32_e64 v11, 0, -1, s[0:1]
	v_cmp_eq_u32_e64 s[0:1], s49, v10
	s_nop 1
	v_cndmask_b32_e64 v17, v14, v11, s[0:1]
	v_lshl_add_u64 v[10:11], v[8:9], 0, 2
	v_lshl_add_u64 v[14:15], v[8:9], 0, 1
	v_cmp_ne_u32_e64 s[0:1], 0, v17
	s_nop 1
	v_cndmask_b32_e64 v11, v15, v11, s[0:1]
	v_cndmask_b32_e64 v15, 0, -1, vcc
	v_cmp_le_u32_e32 vcc, s48, v13
	s_nop 1
	v_cndmask_b32_e64 v13, 0, -1, vcc
	v_cmp_eq_u32_e32 vcc, s49, v3
	s_nop 1
	v_cndmask_b32_e32 v3, v15, v13, vcc
	v_cmp_ne_u32_e32 vcc, 0, v3
	s_nop 1
	v_cndmask_b32_e32 v3, v9, v11, vcc
	v_cndmask_b32_e64 v9, v14, v10, s[0:1]
	v_cndmask_b32_e32 v8, v8, v9, vcc
	v_xor_b32_e32 v9, s46, v12
	v_xor_b32_e32 v8, v8, v9
	;; [unrolled: 1-line block ×3, first 2 shown]
	v_sub_co_u32_e32 v8, vcc, v8, v9
	s_nop 1
	v_subb_co_u32_e32 v9, vcc, v3, v9, vcc
.LBB17_6:                               ;   in Loop: Header=BB17_4 Depth=1
	s_andn2_saveexec_b64 s[0:1], s[2:3]
	s_cbranch_execz .LBB17_8
; %bb.7:                                ;   in Loop: Header=BB17_4 Depth=1
	s_sub_i32 s2, 0, s58
	v_mul_lo_u32 v3, s2, v26
	v_mul_hi_u32 v3, v26, v3
	v_add_u32_e32 v3, v26, v3
	v_mul_hi_u32 v3, v0, v3
	v_mul_lo_u32 v8, v3, s58
	v_sub_u32_e32 v8, v0, v8
	v_subrev_u32_e32 v9, s58, v8
	v_cmp_le_u32_e32 vcc, s58, v8
	s_nop 1
	v_cndmask_b32_e32 v8, v8, v9, vcc
	v_add_u32_e32 v9, 1, v3
	v_cndmask_b32_e32 v3, v3, v9, vcc
	v_add_u32_e32 v9, 1, v3
	v_cmp_le_u32_e32 vcc, s58, v8
	s_nop 1
	v_cndmask_b32_e32 v8, v3, v9, vcc
	v_mov_b32_e32 v9, v2
.LBB17_8:                               ;   in Loop: Header=BB17_4 Depth=1
	s_or_b64 exec, exec, s[0:1]
	v_or_b32_e32 v3, s33, v1
	v_cmp_ne_u64_e32 vcc, 0, v[2:3]
                                        ; implicit-def: $vgpr10_vgpr11
	s_and_saveexec_b64 s[0:1], vcc
	s_xor_b64 s[2:3], exec, s[0:1]
	s_cbranch_execz .LBB17_10
; %bb.9:                                ;   in Loop: Header=BB17_4 Depth=1
	s_ashr_i32 s46, s33, 31
	s_add_u32 s0, s54, s46
	s_mov_b32 s47, s46
	s_addc_u32 s1, s33, s46
	s_xor_b64 s[48:49], s[0:1], s[46:47]
	v_cvt_f32_u32_e32 v3, s48
	v_cvt_f32_u32_e32 v10, s49
	s_sub_u32 s47, 0, s48
	s_subb_u32 s50, 0, s49
	v_mov_b32_e32 v13, v12
	v_fmac_f32_e32 v3, 0x4f800000, v10
	v_rcp_f32_e32 v3, v3
	v_mov_b32_e32 v15, v2
	v_mul_f32_e32 v3, 0x5f7ffffc, v3
	v_mul_f32_e32 v10, 0x2f800000, v3
	v_trunc_f32_e32 v10, v10
	v_fmac_f32_e32 v3, 0xcf800000, v10
	v_cvt_u32_f32_e32 v10, v10
	v_cvt_u32_f32_e32 v3, v3
	v_readfirstlane_b32 s51, v10
	v_readfirstlane_b32 s0, v3
	s_mul_i32 s1, s47, s51
	s_mul_hi_u32 s53, s47, s0
	s_mul_i32 s52, s50, s0
	s_add_i32 s1, s53, s1
	s_add_i32 s1, s1, s52
	s_mul_i32 s69, s47, s0
	s_mul_i32 s53, s0, s1
	s_mul_hi_u32 s70, s0, s69
	s_mul_hi_u32 s52, s0, s1
	s_add_u32 s53, s70, s53
	s_addc_u32 s52, 0, s52
	s_mul_hi_u32 s71, s51, s69
	s_mul_i32 s69, s51, s69
	s_add_u32 s53, s53, s69
	s_mul_hi_u32 s70, s51, s1
	s_addc_u32 s52, s52, s71
	s_addc_u32 s53, s70, 0
	s_mul_i32 s1, s51, s1
	s_add_u32 s1, s52, s1
	s_addc_u32 s52, 0, s53
	s_add_u32 s53, s0, s1
	s_cselect_b64 s[0:1], -1, 0
	s_cmp_lg_u64 s[0:1], 0
	s_addc_u32 s51, s51, s52
	s_mul_i32 s0, s47, s51
	s_mul_hi_u32 s1, s47, s53
	s_add_i32 s0, s1, s0
	s_mul_i32 s50, s50, s53
	s_add_i32 s0, s0, s50
	s_mul_i32 s47, s47, s53
	s_mul_hi_u32 s50, s51, s47
	s_mul_i32 s52, s51, s47
	s_mul_i32 s70, s53, s0
	s_mul_hi_u32 s47, s53, s47
	s_mul_hi_u32 s69, s53, s0
	s_add_u32 s47, s47, s70
	s_addc_u32 s69, 0, s69
	s_add_u32 s47, s47, s52
	s_mul_hi_u32 s1, s51, s0
	s_addc_u32 s47, s69, s50
	s_addc_u32 s1, s1, 0
	s_mul_i32 s0, s51, s0
	s_add_u32 s0, s47, s0
	s_addc_u32 s47, 0, s1
	s_add_u32 s50, s53, s0
	s_cselect_b64 s[0:1], -1, 0
	s_cmp_lg_u64 s[0:1], 0
	v_lshl_add_u64 v[10:11], v[0:1], 0, v[12:13]
	s_addc_u32 s47, s51, s47
	v_xor_b32_e32 v13, v10, v12
	v_xor_b32_e32 v3, v11, v12
	v_mad_u64_u32 v[10:11], s[0:1], v13, s47, 0
	v_mul_hi_u32 v14, v13, s50
	v_lshl_add_u64 v[10:11], v[14:15], 0, v[10:11]
	v_mad_u64_u32 v[16:17], s[0:1], v3, s50, 0
	v_add_co_u32_e32 v10, vcc, v10, v16
	v_mad_u64_u32 v[14:15], s[0:1], v3, s47, 0
	s_nop 0
	v_addc_co_u32_e32 v10, vcc, v11, v17, vcc
	v_mov_b32_e32 v11, v2
	s_nop 0
	v_addc_co_u32_e32 v15, vcc, 0, v15, vcc
	v_lshl_add_u64 v[10:11], v[10:11], 0, v[14:15]
	v_mul_lo_u32 v16, s49, v10
	v_mul_lo_u32 v17, s48, v11
	v_mad_u64_u32 v[14:15], s[0:1], s48, v10, 0
	v_add3_u32 v18, v15, v17, v16
	v_sub_u32_e32 v15, v3, v18
	v_mov_b32_e32 v16, s49
	v_sub_co_u32_e32 v13, vcc, v13, v14
	s_nop 1
	v_subb_co_u32_e64 v14, s[0:1], v15, v16, vcc
	v_subrev_co_u32_e64 v15, s[0:1], s48, v13
	v_subb_co_u32_e32 v3, vcc, v3, v18, vcc
	s_nop 0
	v_subbrev_co_u32_e64 v14, s[0:1], 0, v14, s[0:1]
	v_cmp_le_u32_e64 s[0:1], s49, v14
	v_cmp_le_u32_e32 vcc, s49, v3
	s_nop 0
	v_cndmask_b32_e64 v16, 0, -1, s[0:1]
	v_cmp_le_u32_e64 s[0:1], s48, v15
	s_nop 1
	v_cndmask_b32_e64 v15, 0, -1, s[0:1]
	v_cmp_eq_u32_e64 s[0:1], s49, v14
	s_nop 1
	v_cndmask_b32_e64 v19, v16, v15, s[0:1]
	v_lshl_add_u64 v[14:15], v[10:11], 0, 2
	v_lshl_add_u64 v[16:17], v[10:11], 0, 1
	v_cmp_ne_u32_e64 s[0:1], 0, v19
	s_nop 1
	v_cndmask_b32_e64 v15, v17, v15, s[0:1]
	v_cndmask_b32_e64 v17, 0, -1, vcc
	v_cmp_le_u32_e32 vcc, s48, v13
	s_nop 1
	v_cndmask_b32_e64 v13, 0, -1, vcc
	v_cmp_eq_u32_e32 vcc, s49, v3
	s_nop 1
	v_cndmask_b32_e32 v3, v17, v13, vcc
	v_cmp_ne_u32_e32 vcc, 0, v3
	s_nop 1
	v_cndmask_b32_e32 v3, v11, v15, vcc
	v_cndmask_b32_e64 v11, v16, v14, s[0:1]
	v_cndmask_b32_e32 v10, v10, v11, vcc
	v_xor_b32_e32 v11, s46, v12
	v_xor_b32_e32 v10, v10, v11
	;; [unrolled: 1-line block ×3, first 2 shown]
	v_sub_co_u32_e32 v10, vcc, v10, v11
	s_nop 1
	v_subb_co_u32_e32 v11, vcc, v3, v11, vcc
.LBB17_10:                              ;   in Loop: Header=BB17_4 Depth=1
	s_andn2_saveexec_b64 s[0:1], s[2:3]
	s_cbranch_execz .LBB17_12
; %bb.11:                               ;   in Loop: Header=BB17_4 Depth=1
	v_cvt_f32_u32_e32 v3, s54
	s_sub_i32 s2, 0, s54
	v_rcp_iflag_f32_e32 v3, v3
	s_nop 0
	v_mul_f32_e32 v3, 0x4f7ffffe, v3
	v_cvt_u32_f32_e32 v3, v3
	v_mul_lo_u32 v10, s2, v3
	v_mul_hi_u32 v10, v3, v10
	v_add_u32_e32 v3, v3, v10
	v_mul_hi_u32 v3, v0, v3
	v_mul_lo_u32 v10, v3, s54
	v_sub_u32_e32 v10, v0, v10
	v_add_u32_e32 v11, 1, v3
	v_subrev_u32_e32 v12, s54, v10
	v_cmp_le_u32_e32 vcc, s54, v10
	s_nop 1
	v_cndmask_b32_e32 v10, v10, v12, vcc
	v_cndmask_b32_e32 v3, v3, v11, vcc
	v_add_u32_e32 v11, 1, v3
	v_cmp_le_u32_e32 vcc, s54, v10
	s_nop 1
	v_cndmask_b32_e32 v10, v3, v11, vcc
	v_mov_b32_e32 v11, v2
.LBB17_12:                              ;   in Loop: Header=BB17_4 Depth=1
	s_or_b64 exec, exec, s[0:1]
	v_or_b32_e32 v3, s17, v11
	v_cmp_ne_u64_e32 vcc, 0, v[2:3]
                                        ; implicit-def: $vgpr12_vgpr13
	s_and_saveexec_b64 s[0:1], vcc
	s_xor_b64 s[46:47], exec, s[0:1]
	s_cbranch_execz .LBB17_14
; %bb.13:                               ;   in Loop: Header=BB17_4 Depth=1
	s_ashr_i32 s0, s17, 31
	s_add_u32 s2, s16, s0
	s_mov_b32 s1, s0
	s_addc_u32 s3, s17, s0
	s_xor_b64 s[48:49], s[2:3], s[0:1]
	v_cvt_f32_u32_e32 v3, s48
	v_cvt_f32_u32_e32 v12, s49
	s_sub_u32 s2, 0, s48
	s_subb_u32 s3, 0, s49
	v_ashrrev_i32_e32 v14, 31, v11
	v_fmac_f32_e32 v3, 0x4f800000, v12
	v_rcp_f32_e32 v3, v3
	v_mov_b32_e32 v15, v14
	v_mov_b32_e32 v17, v2
	v_mul_f32_e32 v3, 0x5f7ffffc, v3
	v_mul_f32_e32 v12, 0x2f800000, v3
	v_trunc_f32_e32 v12, v12
	v_fmac_f32_e32 v3, 0xcf800000, v12
	v_cvt_u32_f32_e32 v12, v12
	v_cvt_u32_f32_e32 v3, v3
	v_readfirstlane_b32 s50, v12
	v_readfirstlane_b32 s0, v3
	s_mul_i32 s1, s2, s50
	s_mul_hi_u32 s52, s2, s0
	s_mul_i32 s51, s3, s0
	s_add_i32 s1, s52, s1
	s_add_i32 s1, s1, s51
	s_mul_i32 s53, s2, s0
	s_mul_i32 s52, s0, s1
	s_mul_hi_u32 s69, s0, s53
	s_mul_hi_u32 s51, s0, s1
	s_add_u32 s52, s69, s52
	s_addc_u32 s51, 0, s51
	s_mul_hi_u32 s70, s50, s53
	s_mul_i32 s53, s50, s53
	s_add_u32 s52, s52, s53
	s_mul_hi_u32 s69, s50, s1
	s_addc_u32 s51, s51, s70
	s_addc_u32 s52, s69, 0
	s_mul_i32 s1, s50, s1
	s_add_u32 s1, s51, s1
	s_addc_u32 s51, 0, s52
	s_add_u32 s52, s0, s1
	s_cselect_b64 s[0:1], -1, 0
	s_cmp_lg_u64 s[0:1], 0
	s_addc_u32 s50, s50, s51
	s_mul_i32 s0, s2, s50
	s_mul_hi_u32 s1, s2, s52
	s_add_i32 s0, s1, s0
	s_mul_i32 s3, s3, s52
	s_add_i32 s0, s0, s3
	s_mul_i32 s2, s2, s52
	s_mul_hi_u32 s3, s50, s2
	s_mul_i32 s51, s50, s2
	s_mul_i32 s69, s52, s0
	s_mul_hi_u32 s2, s52, s2
	s_mul_hi_u32 s53, s52, s0
	s_add_u32 s2, s2, s69
	s_addc_u32 s53, 0, s53
	s_add_u32 s2, s2, s51
	s_mul_hi_u32 s1, s50, s0
	s_addc_u32 s2, s53, s3
	s_addc_u32 s1, s1, 0
	s_mul_i32 s0, s50, s0
	s_add_u32 s0, s2, s0
	s_addc_u32 s2, 0, s1
	s_add_u32 s3, s52, s0
	s_cselect_b64 s[0:1], -1, 0
	s_cmp_lg_u64 s[0:1], 0
	v_lshl_add_u64 v[12:13], v[10:11], 0, v[14:15]
	s_addc_u32 s2, s50, s2
	v_xor_b32_e32 v15, v12, v14
	v_xor_b32_e32 v3, v13, v14
	v_mad_u64_u32 v[12:13], s[0:1], v15, s2, 0
	v_mul_hi_u32 v16, v15, s3
	v_lshl_add_u64 v[12:13], v[16:17], 0, v[12:13]
	v_mad_u64_u32 v[18:19], s[0:1], v3, s3, 0
	v_add_co_u32_e32 v12, vcc, v12, v18
	v_mad_u64_u32 v[16:17], s[0:1], v3, s2, 0
	s_nop 0
	v_addc_co_u32_e32 v12, vcc, v13, v19, vcc
	v_mov_b32_e32 v13, v2
	s_nop 0
	v_addc_co_u32_e32 v17, vcc, 0, v17, vcc
	v_lshl_add_u64 v[12:13], v[12:13], 0, v[16:17]
	v_mul_lo_u32 v16, s49, v12
	v_mul_lo_u32 v17, s48, v13
	v_mad_u64_u32 v[12:13], s[0:1], s48, v12, 0
	v_add3_u32 v13, v13, v17, v16
	v_sub_u32_e32 v16, v3, v13
	v_mov_b32_e32 v17, s49
	v_sub_co_u32_e32 v12, vcc, v15, v12
	s_nop 1
	v_subb_co_u32_e64 v15, s[0:1], v16, v17, vcc
	v_subrev_co_u32_e64 v16, s[0:1], s48, v12
	v_subb_co_u32_e32 v3, vcc, v3, v13, vcc
	s_nop 0
	v_subbrev_co_u32_e64 v18, s[2:3], 0, v15, s[0:1]
	v_cmp_le_u32_e64 s[2:3], s49, v18
	v_subb_co_u32_e64 v15, s[0:1], v15, v17, s[0:1]
	s_nop 0
	v_cndmask_b32_e64 v19, 0, -1, s[2:3]
	v_cmp_le_u32_e64 s[2:3], s48, v16
	v_subrev_co_u32_e64 v17, s[0:1], s48, v16
	s_nop 0
	v_cndmask_b32_e64 v20, 0, -1, s[2:3]
	v_cmp_eq_u32_e64 s[2:3], s49, v18
	v_subbrev_co_u32_e64 v15, s[0:1], 0, v15, s[0:1]
	s_nop 0
	v_cndmask_b32_e64 v19, v19, v20, s[2:3]
	v_cmp_le_u32_e32 vcc, s49, v3
	v_cmp_ne_u32_e64 s[0:1], 0, v19
	s_nop 0
	v_cndmask_b32_e64 v13, 0, -1, vcc
	v_cmp_le_u32_e32 vcc, s48, v12
	v_cndmask_b32_e64 v15, v18, v15, s[0:1]
	s_nop 0
	v_cndmask_b32_e64 v18, 0, -1, vcc
	v_cmp_eq_u32_e32 vcc, s49, v3
	s_nop 1
	v_cndmask_b32_e32 v13, v13, v18, vcc
	v_cmp_ne_u32_e32 vcc, 0, v13
	v_cndmask_b32_e64 v13, v16, v17, s[0:1]
	s_nop 0
	v_cndmask_b32_e32 v12, v12, v13, vcc
	v_cndmask_b32_e32 v3, v3, v15, vcc
	v_xor_b32_e32 v12, v12, v14
	v_xor_b32_e32 v3, v3, v14
	v_sub_co_u32_e32 v12, vcc, v12, v14
	s_nop 1
	v_subb_co_u32_e32 v13, vcc, v3, v14, vcc
.LBB17_14:                              ;   in Loop: Header=BB17_4 Depth=1
	s_andn2_saveexec_b64 s[0:1], s[46:47]
	s_cbranch_execz .LBB17_16
; %bb.15:                               ;   in Loop: Header=BB17_4 Depth=1
	v_cvt_f32_u32_e32 v3, s16
	s_sub_i32 s2, 0, s16
	v_mov_b32_e32 v13, v2
	v_rcp_iflag_f32_e32 v3, v3
	s_nop 0
	v_mul_f32_e32 v3, 0x4f7ffffe, v3
	v_cvt_u32_f32_e32 v3, v3
	v_mul_lo_u32 v12, s2, v3
	v_mul_hi_u32 v12, v3, v12
	v_add_u32_e32 v3, v3, v12
	v_mul_hi_u32 v3, v10, v3
	v_mul_lo_u32 v3, v3, s16
	v_sub_u32_e32 v3, v10, v3
	v_subrev_u32_e32 v12, s16, v3
	v_cmp_le_u32_e32 vcc, s16, v3
	s_nop 1
	v_cndmask_b32_e32 v3, v3, v12, vcc
	v_subrev_u32_e32 v12, s16, v3
	v_cmp_le_u32_e32 vcc, s16, v3
	s_nop 1
	v_cndmask_b32_e32 v12, v3, v12, vcc
.LBB17_16:                              ;   in Loop: Header=BB17_4 Depth=1
	s_or_b64 exec, exec, s[0:1]
	v_mad_u64_u32 v[16:17], s[0:1], s67, v10, v[0:1]
	v_mul_lo_u32 v3, s67, v11
	v_mul_lo_u32 v14, s68, v10
	v_add3_u32 v17, v14, v17, v3
	v_or_b32_e32 v3, s9, v17
	v_cmp_ne_u64_e32 vcc, 0, v[2:3]
                                        ; implicit-def: $vgpr14_vgpr15
	s_and_saveexec_b64 s[0:1], vcc
	s_xor_b64 s[2:3], exec, s[0:1]
	s_cbranch_execz .LBB17_18
; %bb.17:                               ;   in Loop: Header=BB17_4 Depth=1
	s_ashr_i32 s46, s9, 31
	s_add_u32 s0, s8, s46
	s_mov_b32 s47, s46
	s_addc_u32 s1, s9, s46
	s_xor_b64 s[48:49], s[0:1], s[46:47]
	v_cvt_f32_u32_e32 v3, s48
	v_cvt_f32_u32_e32 v14, s49
	s_sub_u32 s47, 0, s48
	s_subb_u32 s50, 0, s49
	v_mov_b32_e32 v19, v2
	v_fmac_f32_e32 v3, 0x4f800000, v14
	v_rcp_f32_e32 v3, v3
	s_nop 0
	v_mul_f32_e32 v3, 0x5f7ffffc, v3
	v_mul_f32_e32 v14, 0x2f800000, v3
	v_trunc_f32_e32 v14, v14
	v_fmac_f32_e32 v3, 0xcf800000, v14
	v_cvt_u32_f32_e32 v14, v14
	v_cvt_u32_f32_e32 v3, v3
	v_readfirstlane_b32 s51, v14
	v_readfirstlane_b32 s0, v3
	s_mul_i32 s1, s47, s51
	s_mul_hi_u32 s53, s47, s0
	s_mul_i32 s52, s50, s0
	s_add_i32 s1, s53, s1
	s_add_i32 s1, s1, s52
	s_mul_i32 s69, s47, s0
	s_mul_i32 s53, s0, s1
	s_mul_hi_u32 s70, s0, s69
	s_mul_hi_u32 s52, s0, s1
	s_add_u32 s53, s70, s53
	s_addc_u32 s52, 0, s52
	s_mul_hi_u32 s71, s51, s69
	s_mul_i32 s69, s51, s69
	s_add_u32 s53, s53, s69
	s_mul_hi_u32 s70, s51, s1
	s_addc_u32 s52, s52, s71
	s_addc_u32 s53, s70, 0
	s_mul_i32 s1, s51, s1
	s_add_u32 s1, s52, s1
	s_addc_u32 s52, 0, s53
	s_add_u32 s53, s0, s1
	s_cselect_b64 s[0:1], -1, 0
	s_cmp_lg_u64 s[0:1], 0
	s_addc_u32 s51, s51, s52
	s_mul_i32 s0, s47, s51
	s_mul_hi_u32 s1, s47, s53
	s_add_i32 s0, s1, s0
	s_mul_i32 s50, s50, s53
	s_add_i32 s0, s0, s50
	s_mul_i32 s47, s47, s53
	s_mul_hi_u32 s50, s51, s47
	s_mul_i32 s52, s51, s47
	s_mul_i32 s70, s53, s0
	s_mul_hi_u32 s47, s53, s47
	s_mul_hi_u32 s69, s53, s0
	s_add_u32 s47, s47, s70
	s_addc_u32 s69, 0, s69
	s_add_u32 s47, s47, s52
	s_mul_hi_u32 s1, s51, s0
	s_addc_u32 s47, s69, s50
	s_addc_u32 s1, s1, 0
	s_mul_i32 s0, s51, s0
	s_add_u32 s0, s47, s0
	s_addc_u32 s47, 0, s1
	s_add_u32 s50, s53, s0
	v_ashrrev_i32_e32 v14, 31, v17
	s_cselect_b64 s[0:1], -1, 0
	v_mov_b32_e32 v15, v14
	s_cmp_lg_u64 s[0:1], 0
	v_lshl_add_u64 v[16:17], v[16:17], 0, v[14:15]
	s_addc_u32 s47, s51, s47
	v_xor_b32_e32 v15, v16, v14
	v_xor_b32_e32 v3, v17, v14
	v_mad_u64_u32 v[16:17], s[0:1], v15, s47, 0
	v_mul_hi_u32 v18, v15, s50
	v_lshl_add_u64 v[16:17], v[18:19], 0, v[16:17]
	v_mad_u64_u32 v[20:21], s[0:1], v3, s50, 0
	v_add_co_u32_e32 v16, vcc, v16, v20
	v_mad_u64_u32 v[18:19], s[0:1], v3, s47, 0
	s_nop 0
	v_addc_co_u32_e32 v16, vcc, v17, v21, vcc
	v_mov_b32_e32 v17, v2
	s_nop 0
	v_addc_co_u32_e32 v19, vcc, 0, v19, vcc
	v_lshl_add_u64 v[16:17], v[16:17], 0, v[18:19]
	v_mul_lo_u32 v20, s49, v16
	v_mul_lo_u32 v21, s48, v17
	v_mad_u64_u32 v[18:19], s[0:1], s48, v16, 0
	v_add3_u32 v22, v19, v21, v20
	v_sub_u32_e32 v19, v3, v22
	v_mov_b32_e32 v20, s49
	v_sub_co_u32_e32 v15, vcc, v15, v18
	s_nop 1
	v_subb_co_u32_e64 v18, s[0:1], v19, v20, vcc
	v_subrev_co_u32_e64 v19, s[0:1], s48, v15
	v_subb_co_u32_e32 v3, vcc, v3, v22, vcc
	s_nop 0
	v_subbrev_co_u32_e64 v18, s[0:1], 0, v18, s[0:1]
	v_cmp_le_u32_e64 s[0:1], s49, v18
	v_cmp_le_u32_e32 vcc, s49, v3
	s_nop 0
	v_cndmask_b32_e64 v20, 0, -1, s[0:1]
	v_cmp_le_u32_e64 s[0:1], s48, v19
	s_nop 1
	v_cndmask_b32_e64 v19, 0, -1, s[0:1]
	v_cmp_eq_u32_e64 s[0:1], s49, v18
	s_nop 1
	v_cndmask_b32_e64 v23, v20, v19, s[0:1]
	v_lshl_add_u64 v[18:19], v[16:17], 0, 2
	v_lshl_add_u64 v[20:21], v[16:17], 0, 1
	v_cmp_ne_u32_e64 s[0:1], 0, v23
	s_nop 1
	v_cndmask_b32_e64 v19, v21, v19, s[0:1]
	v_cndmask_b32_e64 v21, 0, -1, vcc
	v_cmp_le_u32_e32 vcc, s48, v15
	s_nop 1
	v_cndmask_b32_e64 v15, 0, -1, vcc
	v_cmp_eq_u32_e32 vcc, s49, v3
	s_nop 1
	v_cndmask_b32_e32 v3, v21, v15, vcc
	v_cmp_ne_u32_e32 vcc, 0, v3
	v_cndmask_b32_e64 v15, v20, v18, s[0:1]
	s_nop 0
	v_cndmask_b32_e32 v15, v16, v15, vcc
	v_xor_b32_e32 v16, s46, v14
	v_cndmask_b32_e32 v3, v17, v19, vcc
	v_xor_b32_e32 v14, v15, v16
	v_xor_b32_e32 v3, v3, v16
	v_sub_co_u32_e32 v14, vcc, v14, v16
	s_nop 1
	v_subb_co_u32_e32 v15, vcc, v3, v16, vcc
                                        ; implicit-def: $vgpr16_vgpr17
.LBB17_18:                              ;   in Loop: Header=BB17_4 Depth=1
	s_andn2_saveexec_b64 s[0:1], s[2:3]
	s_cbranch_execz .LBB17_20
; %bb.19:                               ;   in Loop: Header=BB17_4 Depth=1
	v_cvt_f32_u32_e32 v3, s8
	s_sub_i32 s2, 0, s8
	v_rcp_iflag_f32_e32 v3, v3
	s_nop 0
	v_mul_f32_e32 v3, 0x4f7ffffe, v3
	v_cvt_u32_f32_e32 v3, v3
	v_mul_lo_u32 v14, s2, v3
	v_mul_hi_u32 v14, v3, v14
	v_add_u32_e32 v3, v3, v14
	v_mul_hi_u32 v3, v16, v3
	v_mul_lo_u32 v14, v3, s8
	v_sub_u32_e32 v14, v16, v14
	v_add_u32_e32 v15, 1, v3
	v_subrev_u32_e32 v16, s8, v14
	v_cmp_le_u32_e32 vcc, s8, v14
	s_nop 1
	v_cndmask_b32_e32 v14, v14, v16, vcc
	v_cndmask_b32_e32 v3, v3, v15, vcc
	v_add_u32_e32 v15, 1, v3
	v_cmp_le_u32_e32 vcc, s8, v14
	s_nop 1
	v_cndmask_b32_e32 v14, v3, v15, vcc
	v_mov_b32_e32 v15, v2
.LBB17_20:                              ;   in Loop: Header=BB17_4 Depth=1
	s_or_b64 exec, exec, s[0:1]
	v_mul_lo_u32 v3, v11, s54
	v_mul_lo_u32 v18, v10, s33
	v_mad_u64_u32 v[16:17], s[0:1], v10, s54, 0
	v_add3_u32 v3, v17, v18, v3
	v_sub_co_u32_e32 v18, vcc, v0, v16
	v_mul_lo_u32 v19, v15, s8
	s_nop 0
	v_subb_co_u32_e32 v3, vcc, v1, v3, vcc
	v_mul_lo_u32 v20, v14, s9
	v_mad_u64_u32 v[16:17], s[0:1], v14, s8, 0
	v_add3_u32 v17, v17, v20, v19
	v_sub_co_u32_e32 v29, vcc, v18, v16
	v_mul_lo_u32 v18, s65, v11
	s_nop 0
	v_subb_co_u32_e32 v30, vcc, v3, v17, vcc
	v_mul_lo_u32 v3, s66, v10
	v_mad_u64_u32 v[16:17], s[0:1], s65, v10, 0
	v_add3_u32 v3, v17, v18, v3
	v_sub_co_u32_e32 v27, vcc, v16, v14
	v_mad_u64_u32 v[18:19], s[0:1], s8, v27, 0
	s_nop 0
	v_subb_co_u32_e32 v28, vcc, v3, v15, vcc
	v_mul_lo_u32 v3, s9, v27
	v_mul_lo_u32 v20, s8, v28
	v_mad_u64_u32 v[16:17], s[0:1], s8, v27, v[0:1]
	v_add3_u32 v19, v19, v20, v3
	v_add3_u32 v17, v3, v17, v20
	v_cmp_lt_i64_e32 vcc, 0, v[14:15]
	v_cmp_ge_i64_e64 s[0:1], s[22:23], v[14:15]
	s_and_b64 s[50:51], vcc, s[0:1]
	v_cmp_eq_u64_e32 vcc, v[18:19], v[4:5]
	v_cmp_lt_i64_e64 s[0:1], s[20:21], v[16:17]
	s_or_b64 s[46:47], vcc, s[0:1]
	v_cmp_gt_i64_e32 vcc, s[28:29], v[16:17]
	v_cmp_le_i64_e64 s[0:1], s[36:37], v[16:17]
	v_mov_b32_e32 v3, v2
	s_and_b64 s[2:3], vcc, s[0:1]
	v_lshl_add_u64 v[20:21], s[20:21], 0, v[0:1]
	v_mov_b64_e32 v[16:17], v[2:3]
	s_and_saveexec_b64 s[48:49], s[50:51]
	s_cbranch_execz .LBB17_28
; %bb.21:                               ;   in Loop: Header=BB17_4 Depth=1
	v_mov_b32_e32 v3, s23
	v_sub_co_u32_e32 v24, vcc, s22, v14
	v_mul_lo_u32 v32, v24, s56
	s_nop 0
	v_subb_co_u32_e32 v3, vcc, v3, v15, vcc
	v_mul_lo_u32 v31, v3, s55
	v_mad_u64_u32 v[16:17], s[0:1], v24, s55, v[18:19]
	v_add3_u32 v17, v31, v17, v32
	v_lshl_add_u64 v[22:23], v[20:21], 0, v[16:17]
	v_mov_b32_e32 v3, v2
	v_cmp_gt_i64_e32 vcc, s[24:25], v[22:23]
	v_mov_b64_e32 v[16:17], v[2:3]
	s_and_saveexec_b64 s[0:1], vcc
	s_cbranch_execz .LBB17_23
; %bb.22:                               ;   in Loop: Header=BB17_4 Depth=1
	v_mul_lo_u32 v3, s59, v8
	v_mul_lo_u32 v25, s60, v9
	v_mad_u64_u32 v[16:17], s[50:51], s60, v8, 0
	v_add3_u32 v17, v17, v25, v3
	v_mul_lo_u32 v3, v13, s24
	v_mul_lo_u32 v25, v12, s25
	v_mad_u64_u32 v[34:35], s[50:51], v12, s24, 0
	v_add3_u32 v35, v35, v25, v3
	v_lshl_add_u64 v[16:17], v[16:17], 3, s[6:7]
	v_lshl_add_u64 v[16:17], v[34:35], 3, v[16:17]
	;; [unrolled: 1-line block ×3, first 2 shown]
	global_load_dwordx2 v[16:17], v[16:17], off
	s_waitcnt vmcnt(0)
	v_pk_add_f32 v[16:17], v[16:17], 0 op_sel_hi:[1,0]
.LBB17_23:                              ;   in Loop: Header=BB17_4 Depth=1
	s_or_b64 exec, exec, s[0:1]
	v_mad_u64_u32 v[24:25], s[0:1], v24, s55, 0
	v_add3_u32 v25, v25, v32, v31
	s_mov_b64 s[52:53], 0
                                        ; implicit-def: $vgpr22_vgpr23
	s_and_saveexec_b64 s[0:1], s[46:47]
	s_xor_b64 s[50:51], exec, s[0:1]
	s_cbranch_execnz .LBB17_45
; %bb.24:                               ;   in Loop: Header=BB17_4 Depth=1
	s_andn2_saveexec_b64 s[50:51], s[50:51]
	s_cbranch_execnz .LBB17_48
.LBB17_25:                              ;   in Loop: Header=BB17_4 Depth=1
	s_or_b64 exec, exec, s[50:51]
	s_and_saveexec_b64 s[0:1], s[52:53]
	s_cbranch_execz .LBB17_27
.LBB17_26:                              ;   in Loop: Header=BB17_4 Depth=1
	v_mul_lo_u32 v3, s59, v8
	v_mul_lo_u32 v31, s60, v9
	v_mad_u64_u32 v[24:25], s[50:51], s60, v8, 0
	v_add3_u32 v25, v25, v31, v3
	v_mul_lo_u32 v3, v13, s24
	v_mul_lo_u32 v31, v12, s25
	v_mad_u64_u32 v[32:33], s[50:51], v12, s24, 0
	v_add3_u32 v33, v33, v31, v3
	v_lshl_add_u64 v[24:25], v[24:25], 3, s[6:7]
	v_lshl_add_u64 v[24:25], v[32:33], 3, v[24:25]
	;; [unrolled: 1-line block ×3, first 2 shown]
	global_load_dwordx2 v[22:23], v[22:23], off
	s_waitcnt vmcnt(0)
	v_pk_add_f32 v[16:17], v[16:17], v[22:23]
.LBB17_27:                              ;   in Loop: Header=BB17_4 Depth=1
	s_or_b64 exec, exec, s[0:1]
.LBB17_28:                              ;   in Loop: Header=BB17_4 Depth=1
	s_or_b64 exec, exec, s[48:49]
	v_cmp_gt_i64_e32 vcc, s[30:31], v[14:15]
	v_cmp_le_i64_e64 s[0:1], s[34:35], v[14:15]
	s_and_b64 s[0:1], vcc, s[0:1]
	s_and_saveexec_b64 s[48:49], s[0:1]
	s_cbranch_execz .LBB17_36
; %bb.29:                               ;   in Loop: Header=BB17_4 Depth=1
	v_mov_b32_e32 v22, s64
	v_sub_co_u32_e32 v3, vcc, s63, v14
	v_mul_lo_u32 v24, s56, v3
	s_nop 0
	v_subb_co_u32_e32 v22, vcc, v22, v15, vcc
	v_mul_lo_u32 v25, s55, v22
	v_mad_u64_u32 v[22:23], s[0:1], s55, v3, v[18:19]
	v_add3_u32 v23, v24, v23, v25
	v_lshl_add_u64 v[20:21], v[20:21], 0, v[22:23]
	v_cmp_lt_i64_e32 vcc, -1, v[20:21]
	v_cmp_gt_i64_e64 s[0:1], s[24:25], v[20:21]
	s_and_b64 s[50:51], vcc, s[0:1]
	s_and_saveexec_b64 s[0:1], s[50:51]
	s_cbranch_execz .LBB17_31
; %bb.30:                               ;   in Loop: Header=BB17_4 Depth=1
	v_mul_lo_u32 v31, s59, v8
	v_mul_lo_u32 v32, s60, v9
	v_mad_u64_u32 v[22:23], s[50:51], s60, v8, 0
	v_add3_u32 v23, v23, v32, v31
	v_mul_lo_u32 v31, v13, s24
	v_mul_lo_u32 v34, v12, s25
	v_mad_u64_u32 v[32:33], s[50:51], v12, s24, 0
	v_add3_u32 v33, v33, v34, v31
	v_lshl_add_u64 v[22:23], v[22:23], 3, s[6:7]
	v_lshl_add_u64 v[22:23], v[32:33], 3, v[22:23]
	;; [unrolled: 1-line block ×3, first 2 shown]
	global_load_dwordx2 v[20:21], v[20:21], off
	s_waitcnt vmcnt(0)
	v_pk_add_f32 v[16:17], v[16:17], v[20:21]
.LBB17_31:                              ;   in Loop: Header=BB17_4 Depth=1
	s_or_b64 exec, exec, s[0:1]
	v_mad_u64_u32 v[22:23], s[0:1], s55, v3, 0
	v_add3_u32 v23, v23, v25, v24
	s_mov_b64 s[52:53], 0
                                        ; implicit-def: $vgpr20_vgpr21
	s_and_saveexec_b64 s[0:1], s[46:47]
	s_xor_b64 s[50:51], exec, s[0:1]
	s_cbranch_execnz .LBB17_49
; %bb.32:                               ;   in Loop: Header=BB17_4 Depth=1
	s_andn2_saveexec_b64 s[50:51], s[50:51]
	s_cbranch_execnz .LBB17_52
.LBB17_33:                              ;   in Loop: Header=BB17_4 Depth=1
	s_or_b64 exec, exec, s[50:51]
	s_and_saveexec_b64 s[0:1], s[52:53]
	s_cbranch_execz .LBB17_35
.LBB17_34:                              ;   in Loop: Header=BB17_4 Depth=1
	v_mul_lo_u32 v3, s59, v8
	v_mul_lo_u32 v24, s60, v9
	v_mad_u64_u32 v[22:23], s[50:51], s60, v8, 0
	v_add3_u32 v23, v23, v24, v3
	v_mul_lo_u32 v3, v13, s24
	v_mul_lo_u32 v29, v12, s25
	v_mad_u64_u32 v[24:25], s[50:51], v12, s24, 0
	v_add3_u32 v25, v25, v29, v3
	v_lshl_add_u64 v[22:23], v[22:23], 3, s[6:7]
	v_lshl_add_u64 v[22:23], v[24:25], 3, v[22:23]
	;; [unrolled: 1-line block ×3, first 2 shown]
	global_load_dwordx2 v[20:21], v[20:21], off
	s_waitcnt vmcnt(0)
	v_pk_add_f32 v[16:17], v[16:17], v[20:21]
.LBB17_35:                              ;   in Loop: Header=BB17_4 Depth=1
	s_or_b64 exec, exec, s[0:1]
.LBB17_36:                              ;   in Loop: Header=BB17_4 Depth=1
	s_or_b64 exec, exec, s[48:49]
	v_lshl_add_u64 v[24:25], v[14:15], 0, s[22:23]
	v_mul_lo_u32 v25, v25, s55
	v_mul_lo_u32 v3, v24, s56
                                        ; implicit-def: $vgpr20_vgpr21
	s_and_saveexec_b64 s[0:1], s[46:47]
	s_xor_b64 s[0:1], exec, s[0:1]
	s_cbranch_execnz .LBB17_39
; %bb.37:                               ;   in Loop: Header=BB17_4 Depth=1
	s_or_saveexec_b64 s[46:47], s[0:1]
	v_lshl_add_u64 v[22:23], s[20:21], 0, v[4:5]
	s_xor_b64 exec, exec, s[46:47]
	s_cbranch_execnz .LBB17_40
.LBB17_38:                              ;   in Loop: Header=BB17_4 Depth=1
	s_or_b64 exec, exec, s[46:47]
	s_and_saveexec_b64 s[46:47], s[2:3]
	s_cbranch_execz .LBB17_3
	s_branch .LBB17_43
.LBB17_39:                              ;   in Loop: Header=BB17_4 Depth=1
	v_mad_u64_u32 v[20:21], s[46:47], v24, s55, 0
	v_add3_u32 v21, v21, v3, v25
                                        ; implicit-def: $vgpr24_vgpr25
                                        ; implicit-def: $vgpr3
                                        ; implicit-def: $vgpr25
                                        ; implicit-def: $vgpr18_vgpr19
	s_or_saveexec_b64 s[46:47], s[0:1]
	v_lshl_add_u64 v[22:23], s[20:21], 0, v[4:5]
	s_xor_b64 exec, exec, s[46:47]
	s_cbranch_execz .LBB17_38
.LBB17_40:                              ;   in Loop: Header=BB17_4 Depth=1
	v_mad_u64_u32 v[20:21], s[0:1], v24, s55, 0
	v_add3_u32 v21, v21, v3, v25
	v_sub_co_u32_e32 v18, vcc, v20, v18
	s_nop 1
	v_subb_co_u32_e32 v19, vcc, v21, v19, vcc
	v_lshl_add_u64 v[18:19], v[22:23], 0, v[18:19]
	v_cmp_lt_i64_e32 vcc, -1, v[18:19]
	v_cmp_gt_i64_e64 s[0:1], s[24:25], v[18:19]
	s_and_b64 s[48:49], vcc, s[0:1]
	s_and_saveexec_b64 s[0:1], s[48:49]
	s_cbranch_execz .LBB17_42
; %bb.41:                               ;   in Loop: Header=BB17_4 Depth=1
	v_mul_lo_u32 v3, s59, v8
	v_mul_lo_u32 v29, s60, v9
	v_mad_u64_u32 v[24:25], s[48:49], s60, v8, 0
	v_add3_u32 v25, v25, v29, v3
	v_mul_lo_u32 v3, v13, s24
	v_mul_lo_u32 v29, v12, s25
	v_mad_u64_u32 v[30:31], s[48:49], v12, s24, 0
	v_add3_u32 v31, v31, v29, v3
	v_lshl_add_u64 v[24:25], v[24:25], 3, s[6:7]
	v_lshl_add_u64 v[24:25], v[30:31], 3, v[24:25]
	v_lshl_add_u64 v[18:19], v[18:19], 3, v[24:25]
	global_load_dwordx2 v[18:19], v[18:19], off
	s_waitcnt vmcnt(0)
	v_pk_add_f32 v[16:17], v[16:17], v[18:19]
.LBB17_42:                              ;   in Loop: Header=BB17_4 Depth=1
	s_or_b64 exec, exec, s[0:1]
	s_or_b64 exec, exec, s[46:47]
	s_and_saveexec_b64 s[46:47], s[2:3]
	s_cbranch_execz .LBB17_3
.LBB17_43:                              ;   in Loop: Header=BB17_4 Depth=1
	v_mad_u64_u32 v[14:15], s[0:1], s10, v10, v[14:15]
	v_mul_lo_u32 v3, s10, v11
	v_mul_lo_u32 v10, s11, v10
	v_add3_u32 v15, v10, v15, v3
	v_lshl_add_u64 v[10:11], v[14:15], 0, 2
	v_mul_lo_u32 v3, s8, v11
	v_mul_lo_u32 v14, s9, v10
	v_mad_u64_u32 v[10:11], s[0:1], s8, v10, v[20:21]
	v_add3_u32 v11, v14, v11, v3
	v_lshl_add_u64 v[10:11], v[22:23], 0, v[10:11]
	v_lshl_add_u64 v[10:11], v[10:11], 0, -2
	v_cmp_lt_i64_e32 vcc, -1, v[10:11]
	v_cmp_gt_i64_e64 s[0:1], s[24:25], v[10:11]
	s_and_b64 s[2:3], vcc, s[0:1]
	s_and_saveexec_b64 s[0:1], s[2:3]
	s_cbranch_execz .LBB17_2
; %bb.44:                               ;   in Loop: Header=BB17_4 Depth=1
	v_mul_lo_u32 v3, s59, v8
	v_mul_lo_u32 v18, s60, v9
	v_mad_u64_u32 v[14:15], s[2:3], s60, v8, 0
	v_add3_u32 v15, v15, v18, v3
	v_mul_lo_u32 v3, v13, s24
	v_mul_lo_u32 v22, v12, s25
	v_mad_u64_u32 v[18:19], s[2:3], v12, s24, 0
	v_add3_u32 v19, v19, v22, v3
	v_lshl_add_u64 v[14:15], v[14:15], 3, s[6:7]
	v_lshl_add_u64 v[14:15], v[18:19], 3, v[14:15]
	;; [unrolled: 1-line block ×3, first 2 shown]
	global_load_dwordx2 v[10:11], v[10:11], off
	s_waitcnt vmcnt(0)
	v_pk_add_f32 v[16:17], v[16:17], v[10:11]
	s_branch .LBB17_2
.LBB17_45:                              ;   in Loop: Header=BB17_4 Depth=1
	s_mov_b64 s[0:1], 0
                                        ; implicit-def: $vgpr22_vgpr23
	s_and_saveexec_b64 s[52:53], s[2:3]
	s_xor_b64 s[52:53], exec, s[52:53]
	s_cbranch_execz .LBB17_47
; %bb.46:                               ;   in Loop: Header=BB17_4 Depth=1
	v_mov_b32_e32 v3, s62
	v_sub_co_u32_e32 v22, vcc, s61, v29
	v_mad_u64_u32 v[32:33], s[0:1], s10, v10, v[14:15]
	s_nop 0
	v_subb_co_u32_e32 v23, vcc, v3, v30, vcc
	v_mul_lo_u32 v3, s10, v11
	v_mul_lo_u32 v31, s11, v10
	v_add3_u32 v33, v31, v33, v3
	v_lshl_add_u64 v[32:33], v[32:33], 0, 2
	v_lshl_add_u64 v[22:23], v[22:23], 0, v[24:25]
	v_mul_lo_u32 v3, s8, v33
	v_mul_lo_u32 v31, s9, v32
	v_mad_u64_u32 v[24:25], s[0:1], s8, v32, v[24:25]
	v_add3_u32 v25, v31, v25, v3
	v_lshl_add_u64 v[32:33], s[20:21], 0, v[4:5]
	v_lshl_add_u64 v[24:25], v[32:33], 0, v[24:25]
	v_lshl_add_u64 v[24:25], v[24:25], 0, -2
	v_cmp_lt_i64_e32 vcc, -1, v[24:25]
	v_cmp_gt_i64_e64 s[0:1], s[24:25], v[24:25]
	s_and_b64 s[0:1], vcc, s[0:1]
	s_and_b64 s[0:1], s[0:1], exec
.LBB17_47:                              ;   in Loop: Header=BB17_4 Depth=1
	s_or_b64 exec, exec, s[52:53]
	s_and_b64 s[52:53], s[0:1], exec
                                        ; implicit-def: $vgpr24_vgpr25
	s_andn2_saveexec_b64 s[50:51], s[50:51]
	s_cbranch_execz .LBB17_25
.LBB17_48:                              ;   in Loop: Header=BB17_4 Depth=1
	v_sub_co_u32_e32 v22, vcc, v24, v18
	s_andn2_b64 s[52:53], s[52:53], exec
	s_nop 0
	v_subb_co_u32_e32 v23, vcc, v25, v19, vcc
	v_lshl_add_u64 v[24:25], s[20:21], 0, v[4:5]
	v_lshl_add_u64 v[22:23], v[24:25], 0, v[22:23]
	v_cmp_lt_i64_e32 vcc, -1, v[22:23]
	v_cmp_gt_i64_e64 s[0:1], s[24:25], v[22:23]
	s_and_b64 s[0:1], vcc, s[0:1]
	s_and_b64 s[0:1], s[0:1], exec
	s_or_b64 s[52:53], s[52:53], s[0:1]
	s_or_b64 exec, exec, s[50:51]
	s_and_saveexec_b64 s[0:1], s[52:53]
	s_cbranch_execnz .LBB17_26
	s_branch .LBB17_27
.LBB17_49:                              ;   in Loop: Header=BB17_4 Depth=1
	s_mov_b64 s[0:1], 0
                                        ; implicit-def: $vgpr20_vgpr21
	s_and_saveexec_b64 s[52:53], s[2:3]
	s_xor_b64 s[52:53], exec, s[52:53]
	s_cbranch_execz .LBB17_51
; %bb.50:                               ;   in Loop: Header=BB17_4 Depth=1
	v_lshl_add_u64 v[20:21], s[12:13], 0, v[22:23]
	v_sub_co_u32_e32 v20, vcc, v20, v29
	v_mad_u64_u32 v[24:25], s[0:1], s10, v10, v[14:15]
	v_mul_lo_u32 v3, s10, v11
	v_mul_lo_u32 v29, s11, v10
	v_add3_u32 v25, v29, v25, v3
	v_lshl_add_u64 v[24:25], v[24:25], 0, 2
	v_mul_lo_u32 v3, s8, v25
	v_mul_lo_u32 v25, s9, v24
	v_mad_u64_u32 v[22:23], s[0:1], s8, v24, v[22:23]
	v_add3_u32 v23, v25, v23, v3
	v_lshl_add_u64 v[24:25], s[20:21], 0, v[4:5]
	v_lshl_add_u64 v[22:23], v[24:25], 0, v[22:23]
	v_subb_co_u32_e32 v21, vcc, v21, v30, vcc
	v_lshl_add_u64 v[22:23], v[22:23], 0, -2
	v_cmp_lt_i64_e32 vcc, -1, v[22:23]
	v_cmp_gt_i64_e64 s[0:1], s[24:25], v[22:23]
	s_and_b64 s[0:1], vcc, s[0:1]
	s_and_b64 s[0:1], s[0:1], exec
.LBB17_51:                              ;   in Loop: Header=BB17_4 Depth=1
	s_or_b64 exec, exec, s[52:53]
	s_and_b64 s[52:53], s[0:1], exec
                                        ; implicit-def: $vgpr22_vgpr23
	s_andn2_saveexec_b64 s[50:51], s[50:51]
	s_cbranch_execz .LBB17_33
.LBB17_52:                              ;   in Loop: Header=BB17_4 Depth=1
	v_sub_co_u32_e32 v20, vcc, v22, v18
	s_andn2_b64 s[52:53], s[52:53], exec
	s_nop 0
	v_subb_co_u32_e32 v21, vcc, v23, v19, vcc
	v_lshl_add_u64 v[22:23], s[20:21], 0, v[4:5]
	v_lshl_add_u64 v[20:21], v[22:23], 0, v[20:21]
	v_cmp_lt_i64_e32 vcc, -1, v[20:21]
	v_cmp_gt_i64_e64 s[0:1], s[24:25], v[20:21]
	s_and_b64 s[0:1], vcc, s[0:1]
	s_and_b64 s[0:1], s[0:1], exec
	s_or_b64 s[52:53], s[52:53], s[0:1]
	s_or_b64 exec, exec, s[50:51]
	s_and_saveexec_b64 s[0:1], s[52:53]
	s_cbranch_execnz .LBB17_34
	s_branch .LBB17_35
.LBB17_53:
	s_endpgm
	.section	.rodata,"a",@progbits
	.p2align	6, 0x0
	.amdhsa_kernel _ZN2at6native12_GLOBAL__N_140reflection_pad2d_backward_det_out_kernelIN3c107complexIfEEEEvPT_PKS6_lliiiiiii
		.amdhsa_group_segment_fixed_size 0
		.amdhsa_private_segment_fixed_size 0
		.amdhsa_kernarg_size 320
		.amdhsa_user_sgpr_count 2
		.amdhsa_user_sgpr_dispatch_ptr 0
		.amdhsa_user_sgpr_queue_ptr 0
		.amdhsa_user_sgpr_kernarg_segment_ptr 1
		.amdhsa_user_sgpr_dispatch_id 0
		.amdhsa_user_sgpr_kernarg_preload_length 0
		.amdhsa_user_sgpr_kernarg_preload_offset 0
		.amdhsa_user_sgpr_private_segment_size 0
		.amdhsa_uses_dynamic_stack 0
		.amdhsa_enable_private_segment 0
		.amdhsa_system_sgpr_workgroup_id_x 1
		.amdhsa_system_sgpr_workgroup_id_y 0
		.amdhsa_system_sgpr_workgroup_id_z 0
		.amdhsa_system_sgpr_workgroup_info 0
		.amdhsa_system_vgpr_workitem_id 0
		.amdhsa_next_free_vgpr 36
		.amdhsa_next_free_sgpr 72
		.amdhsa_accum_offset 36
		.amdhsa_reserve_vcc 1
		.amdhsa_float_round_mode_32 0
		.amdhsa_float_round_mode_16_64 0
		.amdhsa_float_denorm_mode_32 3
		.amdhsa_float_denorm_mode_16_64 3
		.amdhsa_dx10_clamp 1
		.amdhsa_ieee_mode 1
		.amdhsa_fp16_overflow 0
		.amdhsa_tg_split 0
		.amdhsa_exception_fp_ieee_invalid_op 0
		.amdhsa_exception_fp_denorm_src 0
		.amdhsa_exception_fp_ieee_div_zero 0
		.amdhsa_exception_fp_ieee_overflow 0
		.amdhsa_exception_fp_ieee_underflow 0
		.amdhsa_exception_fp_ieee_inexact 0
		.amdhsa_exception_int_div_zero 0
	.end_amdhsa_kernel
	.section	.text._ZN2at6native12_GLOBAL__N_140reflection_pad2d_backward_det_out_kernelIN3c107complexIfEEEEvPT_PKS6_lliiiiiii,"axG",@progbits,_ZN2at6native12_GLOBAL__N_140reflection_pad2d_backward_det_out_kernelIN3c107complexIfEEEEvPT_PKS6_lliiiiiii,comdat
.Lfunc_end17:
	.size	_ZN2at6native12_GLOBAL__N_140reflection_pad2d_backward_det_out_kernelIN3c107complexIfEEEEvPT_PKS6_lliiiiiii, .Lfunc_end17-_ZN2at6native12_GLOBAL__N_140reflection_pad2d_backward_det_out_kernelIN3c107complexIfEEEEvPT_PKS6_lliiiiiii
                                        ; -- End function
	.set _ZN2at6native12_GLOBAL__N_140reflection_pad2d_backward_det_out_kernelIN3c107complexIfEEEEvPT_PKS6_lliiiiiii.num_vgpr, 36
	.set _ZN2at6native12_GLOBAL__N_140reflection_pad2d_backward_det_out_kernelIN3c107complexIfEEEEvPT_PKS6_lliiiiiii.num_agpr, 0
	.set _ZN2at6native12_GLOBAL__N_140reflection_pad2d_backward_det_out_kernelIN3c107complexIfEEEEvPT_PKS6_lliiiiiii.numbered_sgpr, 72
	.set _ZN2at6native12_GLOBAL__N_140reflection_pad2d_backward_det_out_kernelIN3c107complexIfEEEEvPT_PKS6_lliiiiiii.num_named_barrier, 0
	.set _ZN2at6native12_GLOBAL__N_140reflection_pad2d_backward_det_out_kernelIN3c107complexIfEEEEvPT_PKS6_lliiiiiii.private_seg_size, 0
	.set _ZN2at6native12_GLOBAL__N_140reflection_pad2d_backward_det_out_kernelIN3c107complexIfEEEEvPT_PKS6_lliiiiiii.uses_vcc, 1
	.set _ZN2at6native12_GLOBAL__N_140reflection_pad2d_backward_det_out_kernelIN3c107complexIfEEEEvPT_PKS6_lliiiiiii.uses_flat_scratch, 0
	.set _ZN2at6native12_GLOBAL__N_140reflection_pad2d_backward_det_out_kernelIN3c107complexIfEEEEvPT_PKS6_lliiiiiii.has_dyn_sized_stack, 0
	.set _ZN2at6native12_GLOBAL__N_140reflection_pad2d_backward_det_out_kernelIN3c107complexIfEEEEvPT_PKS6_lliiiiiii.has_recursion, 0
	.set _ZN2at6native12_GLOBAL__N_140reflection_pad2d_backward_det_out_kernelIN3c107complexIfEEEEvPT_PKS6_lliiiiiii.has_indirect_call, 0
	.section	.AMDGPU.csdata,"",@progbits
; Kernel info:
; codeLenInByte = 5896
; TotalNumSgprs: 78
; NumVgprs: 36
; NumAgprs: 0
; TotalNumVgprs: 36
; ScratchSize: 0
; MemoryBound: 0
; FloatMode: 240
; IeeeMode: 1
; LDSByteSize: 0 bytes/workgroup (compile time only)
; SGPRBlocks: 9
; VGPRBlocks: 4
; NumSGPRsForWavesPerEU: 78
; NumVGPRsForWavesPerEU: 36
; AccumOffset: 36
; Occupancy: 8
; WaveLimiterHint : 0
; COMPUTE_PGM_RSRC2:SCRATCH_EN: 0
; COMPUTE_PGM_RSRC2:USER_SGPR: 2
; COMPUTE_PGM_RSRC2:TRAP_HANDLER: 0
; COMPUTE_PGM_RSRC2:TGID_X_EN: 1
; COMPUTE_PGM_RSRC2:TGID_Y_EN: 0
; COMPUTE_PGM_RSRC2:TGID_Z_EN: 0
; COMPUTE_PGM_RSRC2:TIDIG_COMP_CNT: 0
; COMPUTE_PGM_RSRC3_GFX90A:ACCUM_OFFSET: 8
; COMPUTE_PGM_RSRC3_GFX90A:TG_SPLIT: 0
	.section	.text._ZN2at6native12_GLOBAL__N_136reflection_pad2d_backward_out_kernelIN3c107complexIfEEEEvPT_PKS6_lliiiiiii,"axG",@progbits,_ZN2at6native12_GLOBAL__N_136reflection_pad2d_backward_out_kernelIN3c107complexIfEEEEvPT_PKS6_lliiiiiii,comdat
	.globl	_ZN2at6native12_GLOBAL__N_136reflection_pad2d_backward_out_kernelIN3c107complexIfEEEEvPT_PKS6_lliiiiiii ; -- Begin function _ZN2at6native12_GLOBAL__N_136reflection_pad2d_backward_out_kernelIN3c107complexIfEEEEvPT_PKS6_lliiiiiii
	.p2align	8
	.type	_ZN2at6native12_GLOBAL__N_136reflection_pad2d_backward_out_kernelIN3c107complexIfEEEEvPT_PKS6_lliiiiiii,@function
_ZN2at6native12_GLOBAL__N_136reflection_pad2d_backward_out_kernelIN3c107complexIfEEEEvPT_PKS6_lliiiiiii: ; @_ZN2at6native12_GLOBAL__N_136reflection_pad2d_backward_out_kernelIN3c107complexIfEEEEvPT_PKS6_lliiiiiii
; %bb.0:
	s_load_dword s5, s[0:1], 0x4c
	s_load_dwordx4 s[16:19], s[0:1], 0x20
	s_load_dwordx8 s[8:15], s[0:1], 0x0
	v_mov_b32_e32 v1, 0
	s_waitcnt lgkmcnt(0)
	s_and_b32 s5, s5, 0xffff
	s_ashr_i32 s7, s18, 31
	s_mul_i32 s2, s2, s5
	s_add_u32 s5, s12, s18
	v_add_u32_e32 v0, s2, v0
	s_addc_u32 s30, s13, s7
	s_ashr_i32 s2, s19, 31
	s_add_u32 s34, s5, s19
	s_addc_u32 s23, s30, s2
	s_ashr_i32 s21, s16, 31
	s_add_u32 s31, s14, s16
	;; [unrolled: 3-line block ×3, first 2 shown]
	s_addc_u32 s36, s33, s2
	s_mov_b32 s20, s16
	s_mul_i32 s2, s34, s36
	s_mul_hi_u32 s16, s34, s35
	s_add_i32 s2, s16, s2
	s_mul_i32 s16, s23, s35
	s_add_i32 s17, s2, s16
	s_mul_i32 s16, s34, s35
	v_cmp_gt_i64_e32 vcc, s[16:17], v[0:1]
	s_and_saveexec_b64 s[16:17], vcc
	s_cbranch_execz .LBB18_5
; %bb.1:
	s_mov_b32 s6, s18
	s_load_dwordx4 s[16:19], s[0:1], 0x30
	s_mov_b32 s22, 0
	s_cmp_lg_u64 s[22:23], 0
	s_cbranch_scc0 .LBB18_6
; %bb.2:
	s_ashr_i32 s24, s23, 31
	s_add_u32 s0, s34, s24
	s_mov_b32 s25, s24
	s_addc_u32 s1, s23, s24
	s_xor_b64 s[28:29], s[0:1], s[24:25]
	v_cvt_f32_u32_e32 v2, s28
	v_cvt_f32_u32_e32 v3, s29
	s_sub_u32 s2, 0, s28
	s_waitcnt lgkmcnt(0)
	s_subb_u32 s19, 0, s29
	v_lshl_add_u64 v[4:5], v[0:1], 0, 0
	v_fmamk_f32 v2, v3, 0x4f800000, v2
	v_rcp_f32_e32 v2, v2
	s_nop 0
	v_mul_f32_e32 v2, 0x5f7ffffc, v2
	v_mul_f32_e32 v3, 0x2f800000, v2
	v_trunc_f32_e32 v3, v3
	v_fmamk_f32 v2, v3, 0xcf800000, v2
	v_cvt_u32_f32_e32 v3, v3
	v_cvt_u32_f32_e32 v2, v2
	v_readfirstlane_b32 s22, v3
	v_readfirstlane_b32 s0, v2
	s_mul_i32 s1, s2, s22
	s_mul_hi_u32 s37, s2, s0
	s_mul_i32 s25, s19, s0
	s_add_i32 s1, s37, s1
	s_add_i32 s1, s1, s25
	s_mul_i32 s38, s2, s0
	s_mul_i32 s37, s0, s1
	s_mul_hi_u32 s39, s0, s38
	s_mul_hi_u32 s25, s0, s1
	s_add_u32 s37, s39, s37
	s_addc_u32 s25, 0, s25
	s_mul_hi_u32 s40, s22, s38
	s_mul_i32 s38, s22, s38
	s_add_u32 s37, s37, s38
	s_mul_hi_u32 s39, s22, s1
	s_addc_u32 s25, s25, s40
	s_addc_u32 s37, s39, 0
	s_mul_i32 s1, s22, s1
	s_add_u32 s1, s25, s1
	s_addc_u32 s25, 0, s37
	s_add_u32 s37, s0, s1
	s_cselect_b64 s[0:1], -1, 0
	s_cmp_lg_u64 s[0:1], 0
	s_addc_u32 s22, s22, s25
	s_mul_i32 s0, s2, s22
	s_mul_hi_u32 s1, s2, s37
	s_add_i32 s0, s1, s0
	s_mul_i32 s19, s19, s37
	s_add_i32 s0, s0, s19
	s_mul_i32 s2, s2, s37
	s_mul_hi_u32 s19, s22, s2
	s_mul_i32 s25, s22, s2
	s_mul_i32 s39, s37, s0
	s_mul_hi_u32 s2, s37, s2
	s_mul_hi_u32 s38, s37, s0
	s_add_u32 s2, s2, s39
	s_addc_u32 s38, 0, s38
	s_add_u32 s2, s2, s25
	s_mul_hi_u32 s1, s22, s0
	s_addc_u32 s2, s38, s19
	s_addc_u32 s1, s1, 0
	s_mul_i32 s0, s22, s0
	s_add_u32 s0, s2, s0
	s_addc_u32 s2, 0, s1
	s_add_u32 s19, s37, s0
	s_cselect_b64 s[0:1], -1, 0
	s_cmp_lg_u64 s[0:1], 0
	s_addc_u32 s2, s22, s2
	v_mov_b32_e32 v3, 0
	v_mad_u64_u32 v[6:7], s[0:1], v4, s2, 0
	v_mul_hi_u32 v2, v4, s19
	v_lshl_add_u64 v[6:7], v[2:3], 0, v[6:7]
	v_mad_u64_u32 v[10:11], s[0:1], v5, s19, 0
	v_add_co_u32_e32 v1, vcc, v6, v10
	v_mad_u64_u32 v[8:9], s[0:1], v5, s2, 0
	s_nop 0
	v_addc_co_u32_e32 v2, vcc, v7, v11, vcc
	s_nop 1
	v_addc_co_u32_e32 v9, vcc, 0, v9, vcc
	v_lshl_add_u64 v[2:3], v[2:3], 0, v[8:9]
	v_mul_lo_u32 v1, s29, v2
	v_mul_lo_u32 v8, s28, v3
	v_mad_u64_u32 v[6:7], s[0:1], s28, v2, 0
	v_add3_u32 v1, v7, v8, v1
	v_sub_u32_e32 v7, v5, v1
	v_mov_b32_e32 v8, s29
	v_sub_co_u32_e32 v4, vcc, v4, v6
	s_nop 1
	v_subb_co_u32_e64 v6, s[0:1], v7, v8, vcc
	v_subrev_co_u32_e64 v7, s[0:1], s28, v4
	v_subb_co_u32_e32 v1, vcc, v5, v1, vcc
	s_nop 0
	v_subbrev_co_u32_e64 v6, s[0:1], 0, v6, s[0:1]
	v_cmp_le_u32_e64 s[0:1], s29, v6
	v_cmp_le_u32_e32 vcc, s29, v1
	s_nop 0
	v_cndmask_b32_e64 v8, 0, -1, s[0:1]
	v_cmp_le_u32_e64 s[0:1], s28, v7
	v_cndmask_b32_e64 v5, 0, -1, vcc
	v_cmp_le_u32_e32 vcc, s28, v4
	v_cndmask_b32_e64 v7, 0, -1, s[0:1]
	v_cmp_eq_u32_e64 s[0:1], s29, v6
	v_cndmask_b32_e64 v4, 0, -1, vcc
	v_cmp_eq_u32_e32 vcc, s29, v1
	v_cndmask_b32_e64 v10, v8, v7, s[0:1]
	v_lshl_add_u64 v[6:7], v[2:3], 0, 2
	v_lshl_add_u64 v[8:9], v[2:3], 0, 1
	v_cmp_ne_u32_e64 s[0:1], 0, v10
	v_cndmask_b32_e32 v1, v5, v4, vcc
	v_cmp_ne_u32_e32 vcc, 0, v1
	v_cndmask_b32_e64 v7, v9, v7, s[0:1]
	s_nop 0
	v_cndmask_b32_e32 v1, v3, v7, vcc
	v_cndmask_b32_e64 v3, v8, v6, s[0:1]
	v_cndmask_b32_e32 v2, v2, v3, vcc
	v_xor_b32_e32 v2, s24, v2
	v_xor_b32_e32 v1, s24, v1
	v_mov_b32_e32 v3, s24
	v_subrev_co_u32_e32 v2, vcc, s24, v2
	s_nop 1
	v_subb_co_u32_e32 v3, vcc, v1, v3, vcc
	s_cbranch_execnz .LBB18_4
.LBB18_3:
	v_cvt_f32_u32_e32 v1, s34
	s_sub_i32 s0, 0, s34
	v_rcp_iflag_f32_e32 v1, v1
	s_nop 0
	v_mul_f32_e32 v1, 0x4f7ffffe, v1
	v_cvt_u32_f32_e32 v1, v1
	v_mul_lo_u32 v2, s0, v1
	v_mul_hi_u32 v2, v1, v2
	v_add_u32_e32 v1, v1, v2
	v_mul_hi_u32 v1, v0, v1
	v_mul_lo_u32 v2, v1, s34
	v_sub_u32_e32 v2, v0, v2
	v_add_u32_e32 v3, 1, v1
	v_subrev_u32_e32 v4, s34, v2
	v_cmp_le_u32_e32 vcc, s34, v2
	s_nop 1
	v_cndmask_b32_e32 v2, v2, v4, vcc
	v_cndmask_b32_e32 v1, v1, v3, vcc
	v_add_u32_e32 v3, 1, v1
	v_cmp_le_u32_e32 vcc, s34, v2
	s_nop 1
	v_cndmask_b32_e32 v2, v1, v3, vcc
	v_mov_b32_e32 v3, 0
.LBB18_4:
	s_sub_u32 s0, 0, s20
	s_subb_u32 s1, 0, s21
	s_sub_u32 s24, 0, s6
	s_subb_u32 s25, 0, s7
	s_waitcnt lgkmcnt(0)
	s_add_i32 s2, s16, s3
	s_add_i32 s3, s17, s4
	s_mul_i32 s3, s3, s18
	s_add_i32 s4, s2, s3
	s_mul_i32 s2, s15, s4
	s_mul_hi_u32 s3, s14, s4
	s_add_i32 s15, s3, s2
	v_mul_lo_u32 v1, v3, s34
	v_mul_lo_u32 v10, v2, s23
	v_mad_u64_u32 v[8:9], s[2:3], v2, s34, 0
	v_add3_u32 v1, v9, v10, v1
	v_sub_co_u32_e32 v0, vcc, v0, v8
	v_mov_b32_e32 v8, s7
	s_nop 0
	v_subb_co_u32_e32 v1, vcc, 0, v1, vcc
	v_subrev_co_u32_e32 v9, vcc, s6, v0
	v_mov_b32_e32 v4, s8
	s_nop 0
	v_subb_co_u32_e32 v8, vcc, v1, v8, vcc
	v_ashrrev_i32_e32 v10, 31, v8
	v_xor_b32_e32 v11, v8, v10
	v_mov_b32_e32 v8, s4
	v_mov_b32_e32 v5, s9
	v_xor_b32_e32 v12, v9, v10
	s_mul_i32 s36, s36, s4
	v_mad_u64_u32 v[8:9], s[8:9], s35, v8, v[2:3]
	v_add_u32_e32 v9, s36, v9
	v_mul_lo_u32 v13, v9, s34
	v_mul_lo_u32 v14, v8, s23
	v_mad_u64_u32 v[8:9], s[8:9], v8, s34, 0
	v_mov_b32_e32 v6, s10
	v_mov_b32_e32 v7, s11
	v_add3_u32 v9, v9, v14, v13
	v_lshl_add_u64 v[6:7], v[8:9], 3, v[6:7]
	v_lshl_add_u64 v[6:7], v[0:1], 3, v[6:7]
	global_load_dwordx2 v[6:7], v[6:7], off
	v_sub_co_u32_e32 v8, vcc, v12, v10
	v_cmp_gt_i64_e64 s[2:3], s[24:25], 0
	s_nop 0
	v_subb_co_u32_e32 v9, vcc, v11, v10, vcc
	v_mov_b32_e32 v11, s30
	v_subrev_co_u32_e32 v10, vcc, s5, v0
	s_and_b64 s[2:3], s[2:3], exec
	s_nop 0
	v_subb_co_u32_e32 v11, vcc, v1, v11, vcc
	v_lshl_add_u64 v[10:11], v[10:11], 0, 1
	v_ashrrev_i32_e32 v12, 31, v11
	v_xor_b32_e32 v10, v10, v12
	v_xor_b32_e32 v11, v11, v12
	v_sub_co_u32_e32 v10, vcc, v10, v12
	v_cmp_gt_i64_e64 s[2:3], s[0:1], 0
	s_nop 0
	v_subb_co_u32_e32 v11, vcc, v11, v12, vcc
	s_cselect_b32 s10, s25, 0
	s_cselect_b32 s11, s24, 0
	s_and_b64 s[2:3], s[2:3], exec
	v_mov_b32_e32 v12, s21
	v_subrev_co_u32_e32 v13, vcc, s20, v2
	s_cselect_b32 s16, s1, 0
	s_cselect_b32 s17, s0, 0
	v_cmp_gt_i64_e64 s[0:1], s[6:7], 0
	v_subb_co_u32_e32 v12, vcc, v3, v12, vcc
	s_and_b64 s[0:1], s[0:1], exec
	v_cmp_gt_i64_e64 s[2:3], s[20:21], 0
	v_ashrrev_i32_e32 v14, 31, v12
	s_cselect_b32 s1, s7, 0
	s_cselect_b32 s0, s6, 0
	s_and_b64 s[2:3], s[2:3], exec
	v_xor_b32_e32 v15, v12, v14
	v_xor_b32_e32 v12, v13, v14
	s_cselect_b32 s3, s21, 0
	s_cselect_b32 s2, s20, 0
	v_sub_co_u32_e32 v12, vcc, v12, v14
	s_not_b64 s[2:3], s[2:3]
	s_nop 0
	v_subb_co_u32_e32 v13, vcc, v15, v14, vcc
	s_mul_i32 s14, s14, s4
	v_mov_b32_e32 v15, s33
	v_subrev_co_u32_e32 v14, vcc, s31, v2
	s_add_u32 s4, s31, s20
	s_nop 0
	v_subb_co_u32_e32 v15, vcc, v3, v15, vcc
	s_addc_u32 s8, s33, s21
	v_lshl_add_u64 v[14:15], v[14:15], 0, 1
	s_add_u32 s2, s4, s2
	v_ashrrev_i32_e32 v16, 31, v15
	s_addc_u32 s3, s8, s3
	v_xor_b32_e32 v14, v14, v16
	s_add_u32 s2, s2, s17
	v_xor_b32_e32 v15, v15, v16
	v_sub_co_u32_e32 v14, vcc, v14, v16
	s_addc_u32 s3, s3, s16
	s_nop 0
	v_subb_co_u32_e32 v15, vcc, v15, v16, vcc
	s_add_u32 s2, s2, s14
	s_addc_u32 s3, s3, s15
	v_lshl_add_u64 v[2:3], v[2:3], 0, v[14:15]
	v_mov_b32_e32 v14, s3
	v_sub_co_u32_e32 v2, vcc, s2, v2
	v_lshl_add_u64 v[0:1], v[0:1], 0, v[10:11]
	s_nop 0
	v_subb_co_u32_e32 v3, vcc, v14, v3, vcc
	v_lshl_add_u64 v[2:3], v[2:3], 0, v[12:13]
	v_mul_lo_u32 v12, v3, s12
	v_mul_lo_u32 v13, v2, s13
	v_mad_u64_u32 v[2:3], s[2:3], v2, s12, 0
	s_add_u32 s2, s5, s6
	s_addc_u32 s3, s30, s7
	s_not_b64 s[0:1], s[0:1]
	s_add_u32 s0, s2, s0
	s_addc_u32 s1, s3, s1
	s_add_u32 s0, s0, s11
	s_addc_u32 s1, s1, s10
	v_mov_b32_e32 v10, s1
	v_sub_co_u32_e32 v0, vcc, s0, v0
	v_add3_u32 v3, v3, v13, v12
	s_nop 0
	v_subb_co_u32_e32 v1, vcc, v10, v1, vcc
	v_lshl_add_u64 v[0:1], v[0:1], 3, v[4:5]
	v_lshl_add_u64 v[0:1], v[8:9], 3, v[0:1]
	;; [unrolled: 1-line block ×3, first 2 shown]
	s_waitcnt vmcnt(0)
	global_atomic_add_f32 v[0:1], v6, off
	global_atomic_add_f32 v[0:1], v7, off offset:4
.LBB18_5:
	s_endpgm
.LBB18_6:
                                        ; implicit-def: $vgpr2_vgpr3
	s_branch .LBB18_3
	.section	.rodata,"a",@progbits
	.p2align	6, 0x0
	.amdhsa_kernel _ZN2at6native12_GLOBAL__N_136reflection_pad2d_backward_out_kernelIN3c107complexIfEEEEvPT_PKS6_lliiiiiii
		.amdhsa_group_segment_fixed_size 0
		.amdhsa_private_segment_fixed_size 0
		.amdhsa_kernarg_size 320
		.amdhsa_user_sgpr_count 2
		.amdhsa_user_sgpr_dispatch_ptr 0
		.amdhsa_user_sgpr_queue_ptr 0
		.amdhsa_user_sgpr_kernarg_segment_ptr 1
		.amdhsa_user_sgpr_dispatch_id 0
		.amdhsa_user_sgpr_kernarg_preload_length 0
		.amdhsa_user_sgpr_kernarg_preload_offset 0
		.amdhsa_user_sgpr_private_segment_size 0
		.amdhsa_uses_dynamic_stack 0
		.amdhsa_enable_private_segment 0
		.amdhsa_system_sgpr_workgroup_id_x 1
		.amdhsa_system_sgpr_workgroup_id_y 1
		.amdhsa_system_sgpr_workgroup_id_z 1
		.amdhsa_system_sgpr_workgroup_info 0
		.amdhsa_system_vgpr_workitem_id 0
		.amdhsa_next_free_vgpr 17
		.amdhsa_next_free_sgpr 41
		.amdhsa_accum_offset 20
		.amdhsa_reserve_vcc 1
		.amdhsa_float_round_mode_32 0
		.amdhsa_float_round_mode_16_64 0
		.amdhsa_float_denorm_mode_32 3
		.amdhsa_float_denorm_mode_16_64 3
		.amdhsa_dx10_clamp 1
		.amdhsa_ieee_mode 1
		.amdhsa_fp16_overflow 0
		.amdhsa_tg_split 0
		.amdhsa_exception_fp_ieee_invalid_op 0
		.amdhsa_exception_fp_denorm_src 0
		.amdhsa_exception_fp_ieee_div_zero 0
		.amdhsa_exception_fp_ieee_overflow 0
		.amdhsa_exception_fp_ieee_underflow 0
		.amdhsa_exception_fp_ieee_inexact 0
		.amdhsa_exception_int_div_zero 0
	.end_amdhsa_kernel
	.section	.text._ZN2at6native12_GLOBAL__N_136reflection_pad2d_backward_out_kernelIN3c107complexIfEEEEvPT_PKS6_lliiiiiii,"axG",@progbits,_ZN2at6native12_GLOBAL__N_136reflection_pad2d_backward_out_kernelIN3c107complexIfEEEEvPT_PKS6_lliiiiiii,comdat
.Lfunc_end18:
	.size	_ZN2at6native12_GLOBAL__N_136reflection_pad2d_backward_out_kernelIN3c107complexIfEEEEvPT_PKS6_lliiiiiii, .Lfunc_end18-_ZN2at6native12_GLOBAL__N_136reflection_pad2d_backward_out_kernelIN3c107complexIfEEEEvPT_PKS6_lliiiiiii
                                        ; -- End function
	.set _ZN2at6native12_GLOBAL__N_136reflection_pad2d_backward_out_kernelIN3c107complexIfEEEEvPT_PKS6_lliiiiiii.num_vgpr, 17
	.set _ZN2at6native12_GLOBAL__N_136reflection_pad2d_backward_out_kernelIN3c107complexIfEEEEvPT_PKS6_lliiiiiii.num_agpr, 0
	.set _ZN2at6native12_GLOBAL__N_136reflection_pad2d_backward_out_kernelIN3c107complexIfEEEEvPT_PKS6_lliiiiiii.numbered_sgpr, 41
	.set _ZN2at6native12_GLOBAL__N_136reflection_pad2d_backward_out_kernelIN3c107complexIfEEEEvPT_PKS6_lliiiiiii.num_named_barrier, 0
	.set _ZN2at6native12_GLOBAL__N_136reflection_pad2d_backward_out_kernelIN3c107complexIfEEEEvPT_PKS6_lliiiiiii.private_seg_size, 0
	.set _ZN2at6native12_GLOBAL__N_136reflection_pad2d_backward_out_kernelIN3c107complexIfEEEEvPT_PKS6_lliiiiiii.uses_vcc, 1
	.set _ZN2at6native12_GLOBAL__N_136reflection_pad2d_backward_out_kernelIN3c107complexIfEEEEvPT_PKS6_lliiiiiii.uses_flat_scratch, 0
	.set _ZN2at6native12_GLOBAL__N_136reflection_pad2d_backward_out_kernelIN3c107complexIfEEEEvPT_PKS6_lliiiiiii.has_dyn_sized_stack, 0
	.set _ZN2at6native12_GLOBAL__N_136reflection_pad2d_backward_out_kernelIN3c107complexIfEEEEvPT_PKS6_lliiiiiii.has_recursion, 0
	.set _ZN2at6native12_GLOBAL__N_136reflection_pad2d_backward_out_kernelIN3c107complexIfEEEEvPT_PKS6_lliiiiiii.has_indirect_call, 0
	.section	.AMDGPU.csdata,"",@progbits
; Kernel info:
; codeLenInByte = 1536
; TotalNumSgprs: 47
; NumVgprs: 17
; NumAgprs: 0
; TotalNumVgprs: 17
; ScratchSize: 0
; MemoryBound: 0
; FloatMode: 240
; IeeeMode: 1
; LDSByteSize: 0 bytes/workgroup (compile time only)
; SGPRBlocks: 5
; VGPRBlocks: 2
; NumSGPRsForWavesPerEU: 47
; NumVGPRsForWavesPerEU: 17
; AccumOffset: 20
; Occupancy: 8
; WaveLimiterHint : 0
; COMPUTE_PGM_RSRC2:SCRATCH_EN: 0
; COMPUTE_PGM_RSRC2:USER_SGPR: 2
; COMPUTE_PGM_RSRC2:TRAP_HANDLER: 0
; COMPUTE_PGM_RSRC2:TGID_X_EN: 1
; COMPUTE_PGM_RSRC2:TGID_Y_EN: 1
; COMPUTE_PGM_RSRC2:TGID_Z_EN: 1
; COMPUTE_PGM_RSRC2:TIDIG_COMP_CNT: 0
; COMPUTE_PGM_RSRC3_GFX90A:ACCUM_OFFSET: 4
; COMPUTE_PGM_RSRC3_GFX90A:TG_SPLIT: 0
	.section	.text._ZN2at6native12_GLOBAL__N_140reflection_pad2d_backward_det_out_kernelIN3c104HalfEEEvPT_PKS5_lliiiiiii,"axG",@progbits,_ZN2at6native12_GLOBAL__N_140reflection_pad2d_backward_det_out_kernelIN3c104HalfEEEvPT_PKS5_lliiiiiii,comdat
	.globl	_ZN2at6native12_GLOBAL__N_140reflection_pad2d_backward_det_out_kernelIN3c104HalfEEEvPT_PKS5_lliiiiiii ; -- Begin function _ZN2at6native12_GLOBAL__N_140reflection_pad2d_backward_det_out_kernelIN3c104HalfEEEvPT_PKS5_lliiiiiii
	.p2align	8
	.type	_ZN2at6native12_GLOBAL__N_140reflection_pad2d_backward_det_out_kernelIN3c104HalfEEEvPT_PKS5_lliiiiiii,@function
_ZN2at6native12_GLOBAL__N_140reflection_pad2d_backward_det_out_kernelIN3c104HalfEEEvPT_PKS5_lliiiiiii: ; @_ZN2at6native12_GLOBAL__N_140reflection_pad2d_backward_det_out_kernelIN3c104HalfEEEvPT_PKS5_lliiiiiii
; %bb.0:
	s_load_dword s3, s[0:1], 0x4c
	s_load_dwordx2 s[12:13], s[0:1], 0x30
	s_load_dwordx8 s[4:11], s[0:1], 0x0
	s_add_u32 s20, s0, 64
	s_addc_u32 s21, s1, 0
	s_waitcnt lgkmcnt(0)
	s_and_b32 s3, s3, 0xffff
	s_mul_i32 s2, s2, s3
	s_mul_i32 s14, s10, s9
	s_mul_hi_u32 s15, s10, s8
	v_add_u32_e32 v0, s2, v0
	s_ashr_i32 s2, s12, 31
	s_add_i32 s33, s15, s14
	s_mul_i32 s14, s11, s8
	s_mul_i32 s54, s10, s8
	s_add_i32 s33, s33, s14
	s_mul_i32 s2, s54, s2
	s_mul_hi_u32 s15, s54, s12
	s_ashr_i32 s17, s13, 31
	s_mul_i32 s14, s33, s12
	s_add_i32 s2, s15, s2
	s_mul_i32 s12, s54, s12
	s_add_i32 s2, s2, s14
	s_mul_i32 s14, s12, s17
	s_mul_hi_u32 s15, s12, s13
	v_mov_b32_e32 v2, 0
	s_mul_i32 s2, s2, s13
	s_add_i32 s14, s15, s14
	v_mov_b32_e32 v1, v2
	s_add_i32 s19, s14, s2
	s_mul_i32 s18, s12, s13
	s_mov_b32 s16, s13
	v_cmp_gt_i64_e32 vcc, s[18:19], v[0:1]
	s_and_saveexec_b64 s[12:13], vcc
	s_cbranch_execz .LBB19_53
; %bb.1:
	s_load_dwordx4 s[12:15], s[0:1], 0x20
	s_load_dword s2, s[20:21], 0x0
	s_mul_i32 s58, s54, s16
	v_cvt_f32_u32_e32 v3, s58
	v_sub_co_u32_e32 v4, vcc, 0, v0
	s_waitcnt lgkmcnt(0)
	s_ashr_i32 s21, s14, 31
	s_add_u32 s30, s8, s14
	s_addc_u32 s31, s9, s21
	s_ashr_i32 s1, s15, 31
	s_add_u32 s55, s30, s15
	s_addc_u32 s56, s31, s1
	s_ashr_i32 s23, s12, 31
	s_mov_b32 s0, s15
	s_add_u32 s15, s10, s12
	s_addc_u32 s24, s11, s23
	s_ashr_i32 s35, s13, 31
	s_mov_b32 s34, s13
	s_add_u32 s13, s15, s13
	s_addc_u32 s15, s24, s35
	s_mul_i32 s15, s55, s15
	s_mul_hi_u32 s24, s55, s13
	s_add_i32 s15, s24, s15
	s_mul_i32 s24, s56, s13
	s_add_i32 s25, s15, s24
	s_add_u32 s28, s8, -1
	s_addc_u32 s29, s9, -1
	s_mul_i32 s24, s55, s13
	s_mul_hi_u32 s27, s3, s2
	s_mul_i32 s26, s3, s2
	s_add_u32 s13, s30, s28
	s_mul_i32 s2, s54, s17
	s_mul_hi_u32 s3, s54, s16
	s_addc_u32 s15, s31, s29
	s_add_i32 s2, s3, s2
	s_mul_i32 s3, s33, s16
	s_add_i32 s57, s2, s3
	s_add_u32 s30, s10, -1
	s_addc_u32 s31, s11, -1
	s_not_b64 s[2:3], s[34:35]
	s_add_u32 s34, s10, s2
	s_addc_u32 s35, s11, s3
	s_not_b64 s[0:1], s[0:1]
	s_add_u32 s36, s8, s0
	s_addc_u32 s37, s9, s1
	s_mul_i32 s0, s24, s17
	s_mul_hi_u32 s1, s24, s16
	s_add_i32 s0, s1, s0
	s_mul_i32 s1, s25, s16
	s_add_i32 s59, s0, s1
	s_add_u32 s61, s13, -1
	s_addc_u32 s62, s15, -1
	s_lshl_b64 s[0:1], s[30:31], 1
	s_add_u32 s63, s0, s12
	s_addc_u32 s64, s1, s23
	s_lshl_b64 s[0:1], s[28:29], 1
	v_rcp_iflag_f32_e32 v3, v3
	s_mov_b32 s22, s12
	s_add_u32 s12, s0, s14
	s_addc_u32 s13, s1, s21
	s_mov_b32 s20, s14
	s_sub_u32 s65, 0, s10
	v_subb_co_u32_e64 v5, s[0:1], 0, 0, vcc
	s_subb_u32 s66, 0, s11
	s_lshl_b64 s[38:39], s[16:17], 1
	s_lshl_b64 s[40:41], s[8:9], 1
	;; [unrolled: 1-line block ×3, first 2 shown]
	v_mul_f32_e32 v3, 0x4f7ffffe, v3
	s_add_u32 s42, s6, s0
	v_cvt_u32_f32_e32 v24, v3
	s_addc_u32 s43, s7, s1
	s_lshl_b64 s[44:45], s[26:27], 1
	s_sub_u32 s67, 0, s54
	s_mul_i32 s60, s24, s16
	s_mov_b64 s[14:15], 0
	v_lshlrev_b64 v[6:7], 1, v[0:1]
	s_subb_u32 s68, 0, s33
	s_branch .LBB19_4
.LBB19_2:                               ;   in Loop: Header=BB19_4 Depth=1
	s_or_b64 exec, exec, s[0:1]
.LBB19_3:                               ;   in Loop: Header=BB19_4 Depth=1
	s_or_b64 exec, exec, s[46:47]
	v_lshlrev_b64 v[10:11], 1, v[12:13]
	v_mul_lo_u32 v12, s38, v9
	v_mul_lo_u32 v13, s39, v8
	v_mad_u64_u32 v[8:9], s[0:1], s38, v8, v[10:11]
	v_add3_u32 v9, v13, v9, v12
	v_mul_lo_u32 v12, s41, v3
	v_mul_lo_u32 v13, s40, v25
	v_mad_u64_u32 v[10:11], s[0:1], s40, v3, 0
	v_add3_u32 v11, v11, v13, v12
	v_mul_lo_u32 v3, s24, v9
	v_mad_u64_u32 v[10:11], s[0:1], s24, v8, v[10:11]
	v_mul_lo_u32 v8, s25, v8
	v_add3_u32 v11, v8, v11, v3
	v_lshl_add_u64 v[8:9], v[18:19], 1, v[10:11]
	v_lshl_add_u64 v[8:9], v[6:7], 0, v[8:9]
	;; [unrolled: 1-line block ×3, first 2 shown]
	global_load_ushort v3, v[8:9], off
	v_lshl_add_u64 v[8:9], s[4:5], 0, v[6:7]
	global_load_ushort v10, v[8:9], off
	v_mov_b32_e32 v11, s27
	v_subrev_co_u32_e32 v4, vcc, s26, v4
	v_lshl_add_u64 v[0:1], v[0:1], 0, s[26:27]
	s_nop 0
	v_subb_co_u32_e32 v5, vcc, v5, v11, vcc
	v_cmp_le_i64_e32 vcc, s[18:19], v[0:1]
	s_or_b64 s[14:15], vcc, s[14:15]
	v_lshl_add_u64 v[6:7], v[6:7], 0, s[44:45]
	s_waitcnt vmcnt(1)
	v_add_f16_e32 v3, v26, v3
	s_waitcnt vmcnt(0)
	v_add_f16_e32 v3, v10, v3
	global_store_short v[8:9], v3, off
	s_andn2_b64 exec, exec, s[14:15]
	s_cbranch_execz .LBB19_53
.LBB19_4:                               ; =>This Inner Loop Header: Depth=1
	v_or_b32_e32 v3, s57, v1
	v_cmp_ne_u64_e32 vcc, 0, v[2:3]
	v_ashrrev_i32_e32 v12, 31, v1
                                        ; implicit-def: $vgpr8_vgpr9
	s_and_saveexec_b64 s[0:1], vcc
	s_xor_b64 s[2:3], exec, s[0:1]
	s_cbranch_execz .LBB19_6
; %bb.5:                                ;   in Loop: Header=BB19_4 Depth=1
	s_ashr_i32 s46, s57, 31
	s_add_u32 s0, s58, s46
	s_mov_b32 s47, s46
	s_addc_u32 s1, s57, s46
	s_xor_b64 s[48:49], s[0:1], s[46:47]
	v_cvt_f32_u32_e32 v3, s48
	v_cvt_f32_u32_e32 v8, s49
	s_sub_u32 s47, 0, s48
	s_subb_u32 s50, 0, s49
	v_mov_b32_e32 v13, v12
	v_fmac_f32_e32 v3, 0x4f800000, v8
	v_rcp_f32_e32 v3, v3
	v_mov_b32_e32 v11, v2
	v_mul_f32_e32 v3, 0x5f7ffffc, v3
	v_mul_f32_e32 v8, 0x2f800000, v3
	v_trunc_f32_e32 v8, v8
	v_fmac_f32_e32 v3, 0xcf800000, v8
	v_cvt_u32_f32_e32 v8, v8
	v_cvt_u32_f32_e32 v3, v3
	v_readfirstlane_b32 s51, v8
	v_readfirstlane_b32 s0, v3
	s_mul_i32 s1, s47, s51
	s_mul_hi_u32 s53, s47, s0
	s_mul_i32 s52, s50, s0
	s_add_i32 s1, s53, s1
	s_add_i32 s1, s1, s52
	s_mul_i32 s69, s47, s0
	s_mul_i32 s53, s0, s1
	s_mul_hi_u32 s70, s0, s69
	s_mul_hi_u32 s52, s0, s1
	s_add_u32 s53, s70, s53
	s_addc_u32 s52, 0, s52
	s_mul_hi_u32 s71, s51, s69
	s_mul_i32 s69, s51, s69
	s_add_u32 s53, s53, s69
	s_mul_hi_u32 s70, s51, s1
	s_addc_u32 s52, s52, s71
	s_addc_u32 s53, s70, 0
	s_mul_i32 s1, s51, s1
	s_add_u32 s1, s52, s1
	s_addc_u32 s52, 0, s53
	s_add_u32 s53, s0, s1
	s_cselect_b64 s[0:1], -1, 0
	s_cmp_lg_u64 s[0:1], 0
	s_addc_u32 s51, s51, s52
	s_mul_i32 s0, s47, s51
	s_mul_hi_u32 s1, s47, s53
	s_add_i32 s0, s1, s0
	s_mul_i32 s50, s50, s53
	s_add_i32 s0, s0, s50
	s_mul_i32 s47, s47, s53
	s_mul_hi_u32 s50, s51, s47
	s_mul_i32 s52, s51, s47
	s_mul_i32 s70, s53, s0
	s_mul_hi_u32 s47, s53, s47
	s_mul_hi_u32 s69, s53, s0
	s_add_u32 s47, s47, s70
	s_addc_u32 s69, 0, s69
	s_add_u32 s47, s47, s52
	s_mul_hi_u32 s1, s51, s0
	s_addc_u32 s47, s69, s50
	s_addc_u32 s1, s1, 0
	s_mul_i32 s0, s51, s0
	s_add_u32 s0, s47, s0
	s_addc_u32 s47, 0, s1
	s_add_u32 s50, s53, s0
	s_cselect_b64 s[0:1], -1, 0
	s_cmp_lg_u64 s[0:1], 0
	v_lshl_add_u64 v[8:9], v[0:1], 0, v[12:13]
	s_addc_u32 s47, s51, s47
	v_xor_b32_e32 v13, v8, v12
	v_xor_b32_e32 v3, v9, v12
	v_mad_u64_u32 v[8:9], s[0:1], v13, s47, 0
	v_mul_hi_u32 v10, v13, s50
	v_lshl_add_u64 v[8:9], v[10:11], 0, v[8:9]
	v_mad_u64_u32 v[14:15], s[0:1], v3, s50, 0
	v_add_co_u32_e32 v8, vcc, v8, v14
	v_mad_u64_u32 v[10:11], s[0:1], v3, s47, 0
	s_nop 0
	v_addc_co_u32_e32 v8, vcc, v9, v15, vcc
	v_mov_b32_e32 v9, v2
	s_nop 0
	v_addc_co_u32_e32 v11, vcc, 0, v11, vcc
	v_lshl_add_u64 v[8:9], v[8:9], 0, v[10:11]
	v_mul_lo_u32 v14, s49, v8
	v_mul_lo_u32 v15, s48, v9
	v_mad_u64_u32 v[10:11], s[0:1], s48, v8, 0
	v_add3_u32 v16, v11, v15, v14
	v_sub_u32_e32 v11, v3, v16
	v_mov_b32_e32 v14, s49
	v_sub_co_u32_e32 v13, vcc, v13, v10
	s_nop 1
	v_subb_co_u32_e64 v10, s[0:1], v11, v14, vcc
	v_subrev_co_u32_e64 v11, s[0:1], s48, v13
	v_subb_co_u32_e32 v3, vcc, v3, v16, vcc
	s_nop 0
	v_subbrev_co_u32_e64 v10, s[0:1], 0, v10, s[0:1]
	v_cmp_le_u32_e64 s[0:1], s49, v10
	v_cmp_le_u32_e32 vcc, s49, v3
	s_nop 0
	v_cndmask_b32_e64 v14, 0, -1, s[0:1]
	v_cmp_le_u32_e64 s[0:1], s48, v11
	s_nop 1
	v_cndmask_b32_e64 v11, 0, -1, s[0:1]
	v_cmp_eq_u32_e64 s[0:1], s49, v10
	s_nop 1
	v_cndmask_b32_e64 v17, v14, v11, s[0:1]
	v_lshl_add_u64 v[10:11], v[8:9], 0, 2
	v_lshl_add_u64 v[14:15], v[8:9], 0, 1
	v_cmp_ne_u32_e64 s[0:1], 0, v17
	s_nop 1
	v_cndmask_b32_e64 v11, v15, v11, s[0:1]
	v_cndmask_b32_e64 v15, 0, -1, vcc
	v_cmp_le_u32_e32 vcc, s48, v13
	s_nop 1
	v_cndmask_b32_e64 v13, 0, -1, vcc
	v_cmp_eq_u32_e32 vcc, s49, v3
	s_nop 1
	v_cndmask_b32_e32 v3, v15, v13, vcc
	v_cmp_ne_u32_e32 vcc, 0, v3
	s_nop 1
	v_cndmask_b32_e32 v3, v9, v11, vcc
	v_cndmask_b32_e64 v9, v14, v10, s[0:1]
	v_cndmask_b32_e32 v8, v8, v9, vcc
	v_xor_b32_e32 v9, s46, v12
	v_xor_b32_e32 v8, v8, v9
	;; [unrolled: 1-line block ×3, first 2 shown]
	v_sub_co_u32_e32 v8, vcc, v8, v9
	s_nop 1
	v_subb_co_u32_e32 v9, vcc, v3, v9, vcc
.LBB19_6:                               ;   in Loop: Header=BB19_4 Depth=1
	s_andn2_saveexec_b64 s[0:1], s[2:3]
	s_cbranch_execz .LBB19_8
; %bb.7:                                ;   in Loop: Header=BB19_4 Depth=1
	s_sub_i32 s2, 0, s58
	v_mul_lo_u32 v3, s2, v24
	v_mul_hi_u32 v3, v24, v3
	v_add_u32_e32 v3, v24, v3
	v_mul_hi_u32 v3, v0, v3
	v_mul_lo_u32 v8, v3, s58
	v_sub_u32_e32 v8, v0, v8
	v_subrev_u32_e32 v9, s58, v8
	v_cmp_le_u32_e32 vcc, s58, v8
	s_nop 1
	v_cndmask_b32_e32 v8, v8, v9, vcc
	v_add_u32_e32 v9, 1, v3
	v_cndmask_b32_e32 v3, v3, v9, vcc
	v_add_u32_e32 v9, 1, v3
	v_cmp_le_u32_e32 vcc, s58, v8
	s_nop 1
	v_cndmask_b32_e32 v8, v3, v9, vcc
	v_mov_b32_e32 v9, v2
.LBB19_8:                               ;   in Loop: Header=BB19_4 Depth=1
	s_or_b64 exec, exec, s[0:1]
	v_or_b32_e32 v3, s33, v1
	v_cmp_ne_u64_e32 vcc, 0, v[2:3]
                                        ; implicit-def: $vgpr10_vgpr11
	s_and_saveexec_b64 s[0:1], vcc
	s_xor_b64 s[2:3], exec, s[0:1]
	s_cbranch_execz .LBB19_10
; %bb.9:                                ;   in Loop: Header=BB19_4 Depth=1
	s_ashr_i32 s46, s33, 31
	s_add_u32 s0, s54, s46
	s_mov_b32 s47, s46
	s_addc_u32 s1, s33, s46
	s_xor_b64 s[48:49], s[0:1], s[46:47]
	v_cvt_f32_u32_e32 v3, s48
	v_cvt_f32_u32_e32 v10, s49
	s_sub_u32 s47, 0, s48
	s_subb_u32 s50, 0, s49
	v_mov_b32_e32 v13, v12
	v_fmac_f32_e32 v3, 0x4f800000, v10
	v_rcp_f32_e32 v3, v3
	v_mov_b32_e32 v15, v2
	v_mul_f32_e32 v3, 0x5f7ffffc, v3
	v_mul_f32_e32 v10, 0x2f800000, v3
	v_trunc_f32_e32 v10, v10
	v_fmac_f32_e32 v3, 0xcf800000, v10
	v_cvt_u32_f32_e32 v10, v10
	v_cvt_u32_f32_e32 v3, v3
	v_readfirstlane_b32 s51, v10
	v_readfirstlane_b32 s0, v3
	s_mul_i32 s1, s47, s51
	s_mul_hi_u32 s53, s47, s0
	s_mul_i32 s52, s50, s0
	s_add_i32 s1, s53, s1
	s_add_i32 s1, s1, s52
	s_mul_i32 s69, s47, s0
	s_mul_i32 s53, s0, s1
	s_mul_hi_u32 s70, s0, s69
	s_mul_hi_u32 s52, s0, s1
	s_add_u32 s53, s70, s53
	s_addc_u32 s52, 0, s52
	s_mul_hi_u32 s71, s51, s69
	s_mul_i32 s69, s51, s69
	s_add_u32 s53, s53, s69
	s_mul_hi_u32 s70, s51, s1
	s_addc_u32 s52, s52, s71
	s_addc_u32 s53, s70, 0
	s_mul_i32 s1, s51, s1
	s_add_u32 s1, s52, s1
	s_addc_u32 s52, 0, s53
	s_add_u32 s53, s0, s1
	s_cselect_b64 s[0:1], -1, 0
	s_cmp_lg_u64 s[0:1], 0
	s_addc_u32 s51, s51, s52
	s_mul_i32 s0, s47, s51
	s_mul_hi_u32 s1, s47, s53
	s_add_i32 s0, s1, s0
	s_mul_i32 s50, s50, s53
	s_add_i32 s0, s0, s50
	s_mul_i32 s47, s47, s53
	s_mul_hi_u32 s50, s51, s47
	s_mul_i32 s52, s51, s47
	s_mul_i32 s70, s53, s0
	s_mul_hi_u32 s47, s53, s47
	s_mul_hi_u32 s69, s53, s0
	s_add_u32 s47, s47, s70
	s_addc_u32 s69, 0, s69
	s_add_u32 s47, s47, s52
	s_mul_hi_u32 s1, s51, s0
	s_addc_u32 s47, s69, s50
	s_addc_u32 s1, s1, 0
	s_mul_i32 s0, s51, s0
	s_add_u32 s0, s47, s0
	s_addc_u32 s47, 0, s1
	s_add_u32 s50, s53, s0
	s_cselect_b64 s[0:1], -1, 0
	s_cmp_lg_u64 s[0:1], 0
	v_lshl_add_u64 v[10:11], v[0:1], 0, v[12:13]
	s_addc_u32 s47, s51, s47
	v_xor_b32_e32 v13, v10, v12
	v_xor_b32_e32 v3, v11, v12
	v_mad_u64_u32 v[10:11], s[0:1], v13, s47, 0
	v_mul_hi_u32 v14, v13, s50
	v_lshl_add_u64 v[10:11], v[14:15], 0, v[10:11]
	v_mad_u64_u32 v[16:17], s[0:1], v3, s50, 0
	v_add_co_u32_e32 v10, vcc, v10, v16
	v_mad_u64_u32 v[14:15], s[0:1], v3, s47, 0
	s_nop 0
	v_addc_co_u32_e32 v10, vcc, v11, v17, vcc
	v_mov_b32_e32 v11, v2
	s_nop 0
	v_addc_co_u32_e32 v15, vcc, 0, v15, vcc
	v_lshl_add_u64 v[10:11], v[10:11], 0, v[14:15]
	v_mul_lo_u32 v16, s49, v10
	v_mul_lo_u32 v17, s48, v11
	v_mad_u64_u32 v[14:15], s[0:1], s48, v10, 0
	v_add3_u32 v18, v15, v17, v16
	v_sub_u32_e32 v15, v3, v18
	v_mov_b32_e32 v16, s49
	v_sub_co_u32_e32 v13, vcc, v13, v14
	s_nop 1
	v_subb_co_u32_e64 v14, s[0:1], v15, v16, vcc
	v_subrev_co_u32_e64 v15, s[0:1], s48, v13
	v_subb_co_u32_e32 v3, vcc, v3, v18, vcc
	s_nop 0
	v_subbrev_co_u32_e64 v14, s[0:1], 0, v14, s[0:1]
	v_cmp_le_u32_e64 s[0:1], s49, v14
	v_cmp_le_u32_e32 vcc, s49, v3
	s_nop 0
	v_cndmask_b32_e64 v16, 0, -1, s[0:1]
	v_cmp_le_u32_e64 s[0:1], s48, v15
	s_nop 1
	v_cndmask_b32_e64 v15, 0, -1, s[0:1]
	v_cmp_eq_u32_e64 s[0:1], s49, v14
	s_nop 1
	v_cndmask_b32_e64 v19, v16, v15, s[0:1]
	v_lshl_add_u64 v[14:15], v[10:11], 0, 2
	v_lshl_add_u64 v[16:17], v[10:11], 0, 1
	v_cmp_ne_u32_e64 s[0:1], 0, v19
	s_nop 1
	v_cndmask_b32_e64 v15, v17, v15, s[0:1]
	v_cndmask_b32_e64 v17, 0, -1, vcc
	v_cmp_le_u32_e32 vcc, s48, v13
	s_nop 1
	v_cndmask_b32_e64 v13, 0, -1, vcc
	v_cmp_eq_u32_e32 vcc, s49, v3
	s_nop 1
	v_cndmask_b32_e32 v3, v17, v13, vcc
	v_cmp_ne_u32_e32 vcc, 0, v3
	s_nop 1
	v_cndmask_b32_e32 v3, v11, v15, vcc
	v_cndmask_b32_e64 v11, v16, v14, s[0:1]
	v_cndmask_b32_e32 v10, v10, v11, vcc
	v_xor_b32_e32 v11, s46, v12
	v_xor_b32_e32 v10, v10, v11
	;; [unrolled: 1-line block ×3, first 2 shown]
	v_sub_co_u32_e32 v10, vcc, v10, v11
	s_nop 1
	v_subb_co_u32_e32 v11, vcc, v3, v11, vcc
.LBB19_10:                              ;   in Loop: Header=BB19_4 Depth=1
	s_andn2_saveexec_b64 s[0:1], s[2:3]
	s_cbranch_execz .LBB19_12
; %bb.11:                               ;   in Loop: Header=BB19_4 Depth=1
	v_cvt_f32_u32_e32 v3, s54
	s_sub_i32 s2, 0, s54
	v_rcp_iflag_f32_e32 v3, v3
	s_nop 0
	v_mul_f32_e32 v3, 0x4f7ffffe, v3
	v_cvt_u32_f32_e32 v3, v3
	v_mul_lo_u32 v10, s2, v3
	v_mul_hi_u32 v10, v3, v10
	v_add_u32_e32 v3, v3, v10
	v_mul_hi_u32 v3, v0, v3
	v_mul_lo_u32 v10, v3, s54
	v_sub_u32_e32 v10, v0, v10
	v_add_u32_e32 v11, 1, v3
	v_subrev_u32_e32 v12, s54, v10
	v_cmp_le_u32_e32 vcc, s54, v10
	s_nop 1
	v_cndmask_b32_e32 v10, v10, v12, vcc
	v_cndmask_b32_e32 v3, v3, v11, vcc
	v_add_u32_e32 v11, 1, v3
	v_cmp_le_u32_e32 vcc, s54, v10
	s_nop 1
	v_cndmask_b32_e32 v10, v3, v11, vcc
	v_mov_b32_e32 v11, v2
.LBB19_12:                              ;   in Loop: Header=BB19_4 Depth=1
	s_or_b64 exec, exec, s[0:1]
	v_or_b32_e32 v3, s17, v11
	v_cmp_ne_u64_e32 vcc, 0, v[2:3]
                                        ; implicit-def: $vgpr12_vgpr13
	s_and_saveexec_b64 s[0:1], vcc
	s_xor_b64 s[46:47], exec, s[0:1]
	s_cbranch_execz .LBB19_14
; %bb.13:                               ;   in Loop: Header=BB19_4 Depth=1
	s_ashr_i32 s0, s17, 31
	s_add_u32 s2, s16, s0
	s_mov_b32 s1, s0
	s_addc_u32 s3, s17, s0
	s_xor_b64 s[48:49], s[2:3], s[0:1]
	v_cvt_f32_u32_e32 v3, s48
	v_cvt_f32_u32_e32 v12, s49
	s_sub_u32 s2, 0, s48
	s_subb_u32 s3, 0, s49
	v_ashrrev_i32_e32 v14, 31, v11
	v_fmac_f32_e32 v3, 0x4f800000, v12
	v_rcp_f32_e32 v3, v3
	v_mov_b32_e32 v15, v14
	v_mov_b32_e32 v17, v2
	v_mul_f32_e32 v3, 0x5f7ffffc, v3
	v_mul_f32_e32 v12, 0x2f800000, v3
	v_trunc_f32_e32 v12, v12
	v_fmac_f32_e32 v3, 0xcf800000, v12
	v_cvt_u32_f32_e32 v12, v12
	v_cvt_u32_f32_e32 v3, v3
	v_readfirstlane_b32 s50, v12
	v_readfirstlane_b32 s0, v3
	s_mul_i32 s1, s2, s50
	s_mul_hi_u32 s52, s2, s0
	s_mul_i32 s51, s3, s0
	s_add_i32 s1, s52, s1
	s_add_i32 s1, s1, s51
	s_mul_i32 s53, s2, s0
	s_mul_i32 s52, s0, s1
	s_mul_hi_u32 s69, s0, s53
	s_mul_hi_u32 s51, s0, s1
	s_add_u32 s52, s69, s52
	s_addc_u32 s51, 0, s51
	s_mul_hi_u32 s70, s50, s53
	s_mul_i32 s53, s50, s53
	s_add_u32 s52, s52, s53
	s_mul_hi_u32 s69, s50, s1
	s_addc_u32 s51, s51, s70
	s_addc_u32 s52, s69, 0
	s_mul_i32 s1, s50, s1
	s_add_u32 s1, s51, s1
	s_addc_u32 s51, 0, s52
	s_add_u32 s52, s0, s1
	s_cselect_b64 s[0:1], -1, 0
	s_cmp_lg_u64 s[0:1], 0
	s_addc_u32 s50, s50, s51
	s_mul_i32 s0, s2, s50
	s_mul_hi_u32 s1, s2, s52
	s_add_i32 s0, s1, s0
	s_mul_i32 s3, s3, s52
	s_add_i32 s0, s0, s3
	s_mul_i32 s2, s2, s52
	s_mul_hi_u32 s3, s50, s2
	s_mul_i32 s51, s50, s2
	s_mul_i32 s69, s52, s0
	s_mul_hi_u32 s2, s52, s2
	s_mul_hi_u32 s53, s52, s0
	s_add_u32 s2, s2, s69
	s_addc_u32 s53, 0, s53
	s_add_u32 s2, s2, s51
	s_mul_hi_u32 s1, s50, s0
	s_addc_u32 s2, s53, s3
	s_addc_u32 s1, s1, 0
	s_mul_i32 s0, s50, s0
	s_add_u32 s0, s2, s0
	s_addc_u32 s2, 0, s1
	s_add_u32 s3, s52, s0
	s_cselect_b64 s[0:1], -1, 0
	s_cmp_lg_u64 s[0:1], 0
	v_lshl_add_u64 v[12:13], v[10:11], 0, v[14:15]
	s_addc_u32 s2, s50, s2
	v_xor_b32_e32 v15, v12, v14
	v_xor_b32_e32 v3, v13, v14
	v_mad_u64_u32 v[12:13], s[0:1], v15, s2, 0
	v_mul_hi_u32 v16, v15, s3
	v_lshl_add_u64 v[12:13], v[16:17], 0, v[12:13]
	v_mad_u64_u32 v[18:19], s[0:1], v3, s3, 0
	v_add_co_u32_e32 v12, vcc, v12, v18
	v_mad_u64_u32 v[16:17], s[0:1], v3, s2, 0
	s_nop 0
	v_addc_co_u32_e32 v12, vcc, v13, v19, vcc
	v_mov_b32_e32 v13, v2
	s_nop 0
	v_addc_co_u32_e32 v17, vcc, 0, v17, vcc
	v_lshl_add_u64 v[12:13], v[12:13], 0, v[16:17]
	v_mul_lo_u32 v16, s49, v12
	v_mul_lo_u32 v17, s48, v13
	v_mad_u64_u32 v[12:13], s[0:1], s48, v12, 0
	v_add3_u32 v13, v13, v17, v16
	v_sub_u32_e32 v16, v3, v13
	v_mov_b32_e32 v17, s49
	v_sub_co_u32_e32 v12, vcc, v15, v12
	s_nop 1
	v_subb_co_u32_e64 v15, s[0:1], v16, v17, vcc
	v_subrev_co_u32_e64 v16, s[0:1], s48, v12
	v_subb_co_u32_e32 v3, vcc, v3, v13, vcc
	s_nop 0
	v_subbrev_co_u32_e64 v18, s[2:3], 0, v15, s[0:1]
	v_cmp_le_u32_e64 s[2:3], s49, v18
	v_subb_co_u32_e64 v15, s[0:1], v15, v17, s[0:1]
	s_nop 0
	v_cndmask_b32_e64 v19, 0, -1, s[2:3]
	v_cmp_le_u32_e64 s[2:3], s48, v16
	v_subrev_co_u32_e64 v17, s[0:1], s48, v16
	s_nop 0
	v_cndmask_b32_e64 v20, 0, -1, s[2:3]
	v_cmp_eq_u32_e64 s[2:3], s49, v18
	v_subbrev_co_u32_e64 v15, s[0:1], 0, v15, s[0:1]
	s_nop 0
	v_cndmask_b32_e64 v19, v19, v20, s[2:3]
	v_cmp_le_u32_e32 vcc, s49, v3
	v_cmp_ne_u32_e64 s[0:1], 0, v19
	s_nop 0
	v_cndmask_b32_e64 v13, 0, -1, vcc
	v_cmp_le_u32_e32 vcc, s48, v12
	v_cndmask_b32_e64 v15, v18, v15, s[0:1]
	s_nop 0
	v_cndmask_b32_e64 v18, 0, -1, vcc
	v_cmp_eq_u32_e32 vcc, s49, v3
	s_nop 1
	v_cndmask_b32_e32 v13, v13, v18, vcc
	v_cmp_ne_u32_e32 vcc, 0, v13
	v_cndmask_b32_e64 v13, v16, v17, s[0:1]
	s_nop 0
	v_cndmask_b32_e32 v12, v12, v13, vcc
	v_cndmask_b32_e32 v3, v3, v15, vcc
	v_xor_b32_e32 v12, v12, v14
	v_xor_b32_e32 v3, v3, v14
	v_sub_co_u32_e32 v12, vcc, v12, v14
	s_nop 1
	v_subb_co_u32_e32 v13, vcc, v3, v14, vcc
.LBB19_14:                              ;   in Loop: Header=BB19_4 Depth=1
	s_andn2_saveexec_b64 s[0:1], s[46:47]
	s_cbranch_execz .LBB19_16
; %bb.15:                               ;   in Loop: Header=BB19_4 Depth=1
	v_cvt_f32_u32_e32 v3, s16
	s_sub_i32 s2, 0, s16
	v_mov_b32_e32 v13, v2
	v_rcp_iflag_f32_e32 v3, v3
	s_nop 0
	v_mul_f32_e32 v3, 0x4f7ffffe, v3
	v_cvt_u32_f32_e32 v3, v3
	v_mul_lo_u32 v12, s2, v3
	v_mul_hi_u32 v12, v3, v12
	v_add_u32_e32 v3, v3, v12
	v_mul_hi_u32 v3, v10, v3
	v_mul_lo_u32 v3, v3, s16
	v_sub_u32_e32 v3, v10, v3
	v_subrev_u32_e32 v12, s16, v3
	v_cmp_le_u32_e32 vcc, s16, v3
	s_nop 1
	v_cndmask_b32_e32 v3, v3, v12, vcc
	v_subrev_u32_e32 v12, s16, v3
	v_cmp_le_u32_e32 vcc, s16, v3
	s_nop 1
	v_cndmask_b32_e32 v12, v3, v12, vcc
.LBB19_16:                              ;   in Loop: Header=BB19_4 Depth=1
	s_or_b64 exec, exec, s[0:1]
	v_mad_u64_u32 v[16:17], s[0:1], s67, v10, v[0:1]
	v_mul_lo_u32 v3, s67, v11
	v_mul_lo_u32 v14, s68, v10
	v_add3_u32 v17, v14, v17, v3
	v_or_b32_e32 v3, s9, v17
	v_cmp_ne_u64_e32 vcc, 0, v[2:3]
                                        ; implicit-def: $vgpr14_vgpr15
	s_and_saveexec_b64 s[0:1], vcc
	s_xor_b64 s[2:3], exec, s[0:1]
	s_cbranch_execz .LBB19_18
; %bb.17:                               ;   in Loop: Header=BB19_4 Depth=1
	s_ashr_i32 s46, s9, 31
	s_add_u32 s0, s8, s46
	s_mov_b32 s47, s46
	s_addc_u32 s1, s9, s46
	s_xor_b64 s[48:49], s[0:1], s[46:47]
	v_cvt_f32_u32_e32 v3, s48
	v_cvt_f32_u32_e32 v14, s49
	s_sub_u32 s47, 0, s48
	s_subb_u32 s50, 0, s49
	v_mov_b32_e32 v19, v2
	v_fmac_f32_e32 v3, 0x4f800000, v14
	v_rcp_f32_e32 v3, v3
	s_nop 0
	v_mul_f32_e32 v3, 0x5f7ffffc, v3
	v_mul_f32_e32 v14, 0x2f800000, v3
	v_trunc_f32_e32 v14, v14
	v_fmac_f32_e32 v3, 0xcf800000, v14
	v_cvt_u32_f32_e32 v14, v14
	v_cvt_u32_f32_e32 v3, v3
	v_readfirstlane_b32 s51, v14
	v_readfirstlane_b32 s0, v3
	s_mul_i32 s1, s47, s51
	s_mul_hi_u32 s53, s47, s0
	s_mul_i32 s52, s50, s0
	s_add_i32 s1, s53, s1
	s_add_i32 s1, s1, s52
	s_mul_i32 s69, s47, s0
	s_mul_i32 s53, s0, s1
	s_mul_hi_u32 s70, s0, s69
	s_mul_hi_u32 s52, s0, s1
	s_add_u32 s53, s70, s53
	s_addc_u32 s52, 0, s52
	s_mul_hi_u32 s71, s51, s69
	s_mul_i32 s69, s51, s69
	s_add_u32 s53, s53, s69
	s_mul_hi_u32 s70, s51, s1
	s_addc_u32 s52, s52, s71
	s_addc_u32 s53, s70, 0
	s_mul_i32 s1, s51, s1
	s_add_u32 s1, s52, s1
	s_addc_u32 s52, 0, s53
	s_add_u32 s53, s0, s1
	s_cselect_b64 s[0:1], -1, 0
	s_cmp_lg_u64 s[0:1], 0
	s_addc_u32 s51, s51, s52
	s_mul_i32 s0, s47, s51
	s_mul_hi_u32 s1, s47, s53
	s_add_i32 s0, s1, s0
	s_mul_i32 s50, s50, s53
	s_add_i32 s0, s0, s50
	s_mul_i32 s47, s47, s53
	s_mul_hi_u32 s50, s51, s47
	s_mul_i32 s52, s51, s47
	s_mul_i32 s70, s53, s0
	s_mul_hi_u32 s47, s53, s47
	s_mul_hi_u32 s69, s53, s0
	s_add_u32 s47, s47, s70
	s_addc_u32 s69, 0, s69
	s_add_u32 s47, s47, s52
	s_mul_hi_u32 s1, s51, s0
	s_addc_u32 s47, s69, s50
	s_addc_u32 s1, s1, 0
	s_mul_i32 s0, s51, s0
	s_add_u32 s0, s47, s0
	s_addc_u32 s47, 0, s1
	s_add_u32 s50, s53, s0
	v_ashrrev_i32_e32 v14, 31, v17
	s_cselect_b64 s[0:1], -1, 0
	v_mov_b32_e32 v15, v14
	s_cmp_lg_u64 s[0:1], 0
	v_lshl_add_u64 v[16:17], v[16:17], 0, v[14:15]
	s_addc_u32 s47, s51, s47
	v_xor_b32_e32 v15, v16, v14
	v_xor_b32_e32 v3, v17, v14
	v_mad_u64_u32 v[16:17], s[0:1], v15, s47, 0
	v_mul_hi_u32 v18, v15, s50
	v_lshl_add_u64 v[16:17], v[18:19], 0, v[16:17]
	v_mad_u64_u32 v[20:21], s[0:1], v3, s50, 0
	v_add_co_u32_e32 v16, vcc, v16, v20
	v_mad_u64_u32 v[18:19], s[0:1], v3, s47, 0
	s_nop 0
	v_addc_co_u32_e32 v16, vcc, v17, v21, vcc
	v_mov_b32_e32 v17, v2
	s_nop 0
	v_addc_co_u32_e32 v19, vcc, 0, v19, vcc
	v_lshl_add_u64 v[16:17], v[16:17], 0, v[18:19]
	v_mul_lo_u32 v20, s49, v16
	v_mul_lo_u32 v21, s48, v17
	v_mad_u64_u32 v[18:19], s[0:1], s48, v16, 0
	v_add3_u32 v22, v19, v21, v20
	v_sub_u32_e32 v19, v3, v22
	v_mov_b32_e32 v20, s49
	v_sub_co_u32_e32 v15, vcc, v15, v18
	s_nop 1
	v_subb_co_u32_e64 v18, s[0:1], v19, v20, vcc
	v_subrev_co_u32_e64 v19, s[0:1], s48, v15
	v_subb_co_u32_e32 v3, vcc, v3, v22, vcc
	s_nop 0
	v_subbrev_co_u32_e64 v18, s[0:1], 0, v18, s[0:1]
	v_cmp_le_u32_e64 s[0:1], s49, v18
	v_cmp_le_u32_e32 vcc, s49, v3
	s_nop 0
	v_cndmask_b32_e64 v20, 0, -1, s[0:1]
	v_cmp_le_u32_e64 s[0:1], s48, v19
	s_nop 1
	v_cndmask_b32_e64 v19, 0, -1, s[0:1]
	v_cmp_eq_u32_e64 s[0:1], s49, v18
	s_nop 1
	v_cndmask_b32_e64 v23, v20, v19, s[0:1]
	v_lshl_add_u64 v[18:19], v[16:17], 0, 2
	v_lshl_add_u64 v[20:21], v[16:17], 0, 1
	v_cmp_ne_u32_e64 s[0:1], 0, v23
	s_nop 1
	v_cndmask_b32_e64 v19, v21, v19, s[0:1]
	v_cndmask_b32_e64 v21, 0, -1, vcc
	v_cmp_le_u32_e32 vcc, s48, v15
	s_nop 1
	v_cndmask_b32_e64 v15, 0, -1, vcc
	v_cmp_eq_u32_e32 vcc, s49, v3
	s_nop 1
	v_cndmask_b32_e32 v3, v21, v15, vcc
	v_cmp_ne_u32_e32 vcc, 0, v3
	v_cndmask_b32_e64 v15, v20, v18, s[0:1]
	s_nop 0
	v_cndmask_b32_e32 v15, v16, v15, vcc
	v_xor_b32_e32 v16, s46, v14
	v_cndmask_b32_e32 v3, v17, v19, vcc
	v_xor_b32_e32 v14, v15, v16
	v_xor_b32_e32 v3, v3, v16
	v_sub_co_u32_e32 v14, vcc, v14, v16
	s_nop 1
	v_subb_co_u32_e32 v15, vcc, v3, v16, vcc
                                        ; implicit-def: $vgpr16_vgpr17
.LBB19_18:                              ;   in Loop: Header=BB19_4 Depth=1
	s_andn2_saveexec_b64 s[0:1], s[2:3]
	s_cbranch_execz .LBB19_20
; %bb.19:                               ;   in Loop: Header=BB19_4 Depth=1
	v_cvt_f32_u32_e32 v3, s8
	s_sub_i32 s2, 0, s8
	v_rcp_iflag_f32_e32 v3, v3
	s_nop 0
	v_mul_f32_e32 v3, 0x4f7ffffe, v3
	v_cvt_u32_f32_e32 v3, v3
	v_mul_lo_u32 v14, s2, v3
	v_mul_hi_u32 v14, v3, v14
	v_add_u32_e32 v3, v3, v14
	v_mul_hi_u32 v3, v16, v3
	v_mul_lo_u32 v14, v3, s8
	v_sub_u32_e32 v14, v16, v14
	v_add_u32_e32 v15, 1, v3
	v_subrev_u32_e32 v16, s8, v14
	v_cmp_le_u32_e32 vcc, s8, v14
	s_nop 1
	v_cndmask_b32_e32 v14, v14, v16, vcc
	v_cndmask_b32_e32 v3, v3, v15, vcc
	v_add_u32_e32 v15, 1, v3
	v_cmp_le_u32_e32 vcc, s8, v14
	s_nop 1
	v_cndmask_b32_e32 v14, v3, v15, vcc
	v_mov_b32_e32 v15, v2
.LBB19_20:                              ;   in Loop: Header=BB19_4 Depth=1
	s_or_b64 exec, exec, s[0:1]
	v_mul_lo_u32 v3, v11, s54
	v_mul_lo_u32 v18, v10, s33
	v_mad_u64_u32 v[16:17], s[0:1], v10, s54, 0
	v_add3_u32 v3, v17, v18, v3
	v_sub_co_u32_e32 v18, vcc, v0, v16
	v_mul_lo_u32 v19, v15, s8
	s_nop 0
	v_subb_co_u32_e32 v3, vcc, v1, v3, vcc
	v_mul_lo_u32 v20, v14, s9
	v_mad_u64_u32 v[16:17], s[0:1], v14, s8, 0
	v_add3_u32 v17, v17, v20, v19
	v_sub_co_u32_e32 v27, vcc, v18, v16
	v_mul_lo_u32 v18, s65, v11
	s_nop 0
	v_subb_co_u32_e32 v28, vcc, v3, v17, vcc
	;; [unrolled: 7-line block ×3, first 2 shown]
	v_mul_lo_u32 v21, s8, v25
	v_mad_u64_u32 v[16:17], s[0:1], s8, v3, 0
	v_mad_u64_u32 v[18:19], s[0:1], s8, v3, v[0:1]
	v_add3_u32 v17, v17, v21, v20
	v_add3_u32 v19, v20, v19, v21
	v_cmp_lt_i64_e32 vcc, 0, v[14:15]
	v_cmp_ge_i64_e64 s[0:1], s[22:23], v[14:15]
	s_and_b64 s[50:51], vcc, s[0:1]
	v_cmp_eq_u64_e32 vcc, v[16:17], v[4:5]
	v_cmp_lt_i64_e64 s[0:1], s[20:21], v[18:19]
	s_or_b64 s[46:47], vcc, s[0:1]
	v_cmp_gt_i64_e32 vcc, s[28:29], v[18:19]
	v_cmp_le_i64_e64 s[0:1], s[36:37], v[18:19]
	s_and_b64 s[2:3], vcc, s[0:1]
	v_mov_b32_e32 v26, 0
	v_lshl_add_u64 v[18:19], s[20:21], 0, v[0:1]
	s_and_saveexec_b64 s[48:49], s[50:51]
	s_cbranch_execz .LBB19_28
; %bb.21:                               ;   in Loop: Header=BB19_4 Depth=1
	v_mov_b32_e32 v20, s23
	v_sub_co_u32_e32 v22, vcc, s22, v14
	v_mul_lo_u32 v30, v22, s56
	s_nop 0
	v_subb_co_u32_e32 v20, vcc, v20, v15, vcc
	v_mul_lo_u32 v29, v20, s55
	v_mad_u64_u32 v[20:21], s[0:1], v22, s55, v[16:17]
	v_add3_u32 v21, v29, v21, v30
	v_lshl_add_u64 v[20:21], v[18:19], 0, v[20:21]
	v_cmp_gt_i64_e32 vcc, s[24:25], v[20:21]
	v_mov_b32_e32 v26, 0
	s_and_saveexec_b64 s[0:1], vcc
	s_cbranch_execz .LBB19_23
; %bb.22:                               ;   in Loop: Header=BB19_4 Depth=1
	v_mul_lo_u32 v23, s59, v8
	v_mul_lo_u32 v26, s60, v9
	v_mad_u64_u32 v[32:33], s[50:51], s60, v8, 0
	v_add3_u32 v33, v33, v26, v23
	v_mul_lo_u32 v23, v13, s24
	v_mul_lo_u32 v26, v12, s25
	v_mad_u64_u32 v[34:35], s[50:51], v12, s24, 0
	v_add3_u32 v35, v35, v26, v23
	v_lshl_add_u64 v[32:33], v[32:33], 1, s[6:7]
	v_lshl_add_u64 v[32:33], v[34:35], 1, v[32:33]
	;; [unrolled: 1-line block ×3, first 2 shown]
	global_load_ushort v20, v[20:21], off
	s_waitcnt vmcnt(0)
	v_add_f16_e32 v26, 0, v20
.LBB19_23:                              ;   in Loop: Header=BB19_4 Depth=1
	s_or_b64 exec, exec, s[0:1]
	v_mad_u64_u32 v[22:23], s[0:1], v22, s55, 0
	v_add3_u32 v23, v23, v30, v29
	s_mov_b64 s[52:53], 0
                                        ; implicit-def: $vgpr20_vgpr21
	s_and_saveexec_b64 s[0:1], s[46:47]
	s_xor_b64 s[50:51], exec, s[0:1]
	s_cbranch_execnz .LBB19_45
; %bb.24:                               ;   in Loop: Header=BB19_4 Depth=1
	s_andn2_saveexec_b64 s[50:51], s[50:51]
	s_cbranch_execnz .LBB19_48
.LBB19_25:                              ;   in Loop: Header=BB19_4 Depth=1
	s_or_b64 exec, exec, s[50:51]
	s_and_saveexec_b64 s[0:1], s[52:53]
	s_cbranch_execz .LBB19_27
.LBB19_26:                              ;   in Loop: Header=BB19_4 Depth=1
	v_mul_lo_u32 v29, s59, v8
	v_mul_lo_u32 v30, s60, v9
	v_mad_u64_u32 v[22:23], s[50:51], s60, v8, 0
	v_add3_u32 v23, v23, v30, v29
	v_mul_lo_u32 v29, v13, s24
	v_mul_lo_u32 v32, v12, s25
	v_mad_u64_u32 v[30:31], s[50:51], v12, s24, 0
	v_add3_u32 v31, v31, v32, v29
	v_lshl_add_u64 v[22:23], v[22:23], 1, s[6:7]
	v_lshl_add_u64 v[22:23], v[30:31], 1, v[22:23]
	v_lshl_add_u64 v[20:21], v[20:21], 1, v[22:23]
	global_load_ushort v20, v[20:21], off
	s_waitcnt vmcnt(0)
	v_add_f16_e32 v26, v26, v20
.LBB19_27:                              ;   in Loop: Header=BB19_4 Depth=1
	s_or_b64 exec, exec, s[0:1]
.LBB19_28:                              ;   in Loop: Header=BB19_4 Depth=1
	s_or_b64 exec, exec, s[48:49]
	v_cmp_gt_i64_e32 vcc, s[30:31], v[14:15]
	v_cmp_le_i64_e64 s[0:1], s[34:35], v[14:15]
	s_and_b64 s[0:1], vcc, s[0:1]
	s_and_saveexec_b64 s[48:49], s[0:1]
	s_cbranch_execz .LBB19_36
; %bb.29:                               ;   in Loop: Header=BB19_4 Depth=1
	v_mov_b32_e32 v21, s64
	v_sub_co_u32_e32 v20, vcc, s63, v14
	v_mul_lo_u32 v22, s56, v20
	s_nop 0
	v_subb_co_u32_e32 v21, vcc, v21, v15, vcc
	v_mul_lo_u32 v23, s55, v21
	v_mad_u64_u32 v[30:31], s[0:1], s55, v20, v[16:17]
	v_add3_u32 v31, v22, v31, v23
	v_lshl_add_u64 v[18:19], v[18:19], 0, v[30:31]
	v_cmp_lt_i64_e32 vcc, -1, v[18:19]
	v_cmp_gt_i64_e64 s[0:1], s[24:25], v[18:19]
	s_and_b64 s[50:51], vcc, s[0:1]
	s_and_saveexec_b64 s[0:1], s[50:51]
	s_cbranch_execz .LBB19_31
; %bb.30:                               ;   in Loop: Header=BB19_4 Depth=1
	v_mul_lo_u32 v21, s59, v8
	v_mul_lo_u32 v29, s60, v9
	v_mad_u64_u32 v[30:31], s[50:51], s60, v8, 0
	v_add3_u32 v31, v31, v29, v21
	v_mul_lo_u32 v21, v13, s24
	v_mul_lo_u32 v29, v12, s25
	v_mad_u64_u32 v[32:33], s[50:51], v12, s24, 0
	v_add3_u32 v33, v33, v29, v21
	v_lshl_add_u64 v[30:31], v[30:31], 1, s[6:7]
	v_lshl_add_u64 v[30:31], v[32:33], 1, v[30:31]
	;; [unrolled: 1-line block ×3, first 2 shown]
	global_load_ushort v18, v[18:19], off
	s_waitcnt vmcnt(0)
	v_add_f16_e32 v26, v26, v18
.LBB19_31:                              ;   in Loop: Header=BB19_4 Depth=1
	s_or_b64 exec, exec, s[0:1]
	v_mad_u64_u32 v[20:21], s[0:1], s55, v20, 0
	v_add3_u32 v21, v21, v23, v22
	s_mov_b64 s[52:53], 0
                                        ; implicit-def: $vgpr18_vgpr19
	s_and_saveexec_b64 s[0:1], s[46:47]
	s_xor_b64 s[50:51], exec, s[0:1]
	s_cbranch_execnz .LBB19_49
; %bb.32:                               ;   in Loop: Header=BB19_4 Depth=1
	s_andn2_saveexec_b64 s[50:51], s[50:51]
	s_cbranch_execnz .LBB19_52
.LBB19_33:                              ;   in Loop: Header=BB19_4 Depth=1
	s_or_b64 exec, exec, s[50:51]
	s_and_saveexec_b64 s[0:1], s[52:53]
	s_cbranch_execz .LBB19_35
.LBB19_34:                              ;   in Loop: Header=BB19_4 Depth=1
	v_mul_lo_u32 v22, s59, v8
	v_mul_lo_u32 v23, s60, v9
	v_mad_u64_u32 v[20:21], s[50:51], s60, v8, 0
	v_add3_u32 v21, v21, v23, v22
	v_mul_lo_u32 v27, v13, s24
	v_mul_lo_u32 v28, v12, s25
	v_mad_u64_u32 v[22:23], s[50:51], v12, s24, 0
	v_add3_u32 v23, v23, v28, v27
	v_lshl_add_u64 v[20:21], v[20:21], 1, s[6:7]
	v_lshl_add_u64 v[20:21], v[22:23], 1, v[20:21]
	;; [unrolled: 1-line block ×3, first 2 shown]
	global_load_ushort v18, v[18:19], off
	s_waitcnt vmcnt(0)
	v_add_f16_e32 v26, v26, v18
.LBB19_35:                              ;   in Loop: Header=BB19_4 Depth=1
	s_or_b64 exec, exec, s[0:1]
.LBB19_36:                              ;   in Loop: Header=BB19_4 Depth=1
	s_or_b64 exec, exec, s[48:49]
	v_lshl_add_u64 v[22:23], v[14:15], 0, s[22:23]
	v_mul_lo_u32 v27, v23, s55
	v_mul_lo_u32 v23, v22, s56
                                        ; implicit-def: $vgpr18_vgpr19
	s_and_saveexec_b64 s[0:1], s[46:47]
	s_xor_b64 s[0:1], exec, s[0:1]
	s_cbranch_execnz .LBB19_39
; %bb.37:                               ;   in Loop: Header=BB19_4 Depth=1
	s_or_saveexec_b64 s[46:47], s[0:1]
	v_lshl_add_u64 v[20:21], s[20:21], 0, v[4:5]
	s_xor_b64 exec, exec, s[46:47]
	s_cbranch_execnz .LBB19_40
.LBB19_38:                              ;   in Loop: Header=BB19_4 Depth=1
	s_or_b64 exec, exec, s[46:47]
	s_and_saveexec_b64 s[46:47], s[2:3]
	s_cbranch_execz .LBB19_3
	s_branch .LBB19_43
.LBB19_39:                              ;   in Loop: Header=BB19_4 Depth=1
	v_mad_u64_u32 v[18:19], s[46:47], v22, s55, 0
	v_add3_u32 v19, v19, v23, v27
                                        ; implicit-def: $vgpr22_vgpr23
                                        ; implicit-def: $vgpr23
                                        ; implicit-def: $vgpr27
                                        ; implicit-def: $vgpr16_vgpr17
	s_or_saveexec_b64 s[46:47], s[0:1]
	v_lshl_add_u64 v[20:21], s[20:21], 0, v[4:5]
	s_xor_b64 exec, exec, s[46:47]
	s_cbranch_execz .LBB19_38
.LBB19_40:                              ;   in Loop: Header=BB19_4 Depth=1
	v_mad_u64_u32 v[18:19], s[0:1], v22, s55, 0
	v_add3_u32 v19, v19, v23, v27
	v_sub_co_u32_e32 v16, vcc, v18, v16
	s_nop 1
	v_subb_co_u32_e32 v17, vcc, v19, v17, vcc
	v_lshl_add_u64 v[16:17], v[20:21], 0, v[16:17]
	v_cmp_lt_i64_e32 vcc, -1, v[16:17]
	v_cmp_gt_i64_e64 s[0:1], s[24:25], v[16:17]
	s_and_b64 s[48:49], vcc, s[0:1]
	s_and_saveexec_b64 s[0:1], s[48:49]
	s_cbranch_execz .LBB19_42
; %bb.41:                               ;   in Loop: Header=BB19_4 Depth=1
	v_mul_lo_u32 v27, s59, v8
	v_mul_lo_u32 v28, s60, v9
	v_mad_u64_u32 v[22:23], s[48:49], s60, v8, 0
	v_add3_u32 v23, v23, v28, v27
	v_mul_lo_u32 v27, v13, s24
	v_mul_lo_u32 v30, v12, s25
	v_mad_u64_u32 v[28:29], s[48:49], v12, s24, 0
	v_add3_u32 v29, v29, v30, v27
	v_lshl_add_u64 v[22:23], v[22:23], 1, s[6:7]
	v_lshl_add_u64 v[22:23], v[28:29], 1, v[22:23]
	;; [unrolled: 1-line block ×3, first 2 shown]
	global_load_ushort v16, v[16:17], off
	s_waitcnt vmcnt(0)
	v_add_f16_e32 v26, v26, v16
.LBB19_42:                              ;   in Loop: Header=BB19_4 Depth=1
	s_or_b64 exec, exec, s[0:1]
	s_or_b64 exec, exec, s[46:47]
	s_and_saveexec_b64 s[46:47], s[2:3]
	s_cbranch_execz .LBB19_3
.LBB19_43:                              ;   in Loop: Header=BB19_4 Depth=1
	v_mad_u64_u32 v[14:15], s[0:1], s10, v10, v[14:15]
	v_mul_lo_u32 v11, s10, v11
	v_mul_lo_u32 v10, s11, v10
	v_add3_u32 v15, v10, v15, v11
	v_lshl_add_u64 v[10:11], v[14:15], 0, 2
	v_mul_lo_u32 v14, s8, v11
	v_mul_lo_u32 v15, s9, v10
	v_mad_u64_u32 v[10:11], s[0:1], s8, v10, v[18:19]
	v_add3_u32 v11, v15, v11, v14
	v_lshl_add_u64 v[10:11], v[20:21], 0, v[10:11]
	v_lshl_add_u64 v[10:11], v[10:11], 0, -2
	v_cmp_lt_i64_e32 vcc, -1, v[10:11]
	v_cmp_gt_i64_e64 s[0:1], s[24:25], v[10:11]
	s_and_b64 s[2:3], vcc, s[0:1]
	s_and_saveexec_b64 s[0:1], s[2:3]
	s_cbranch_execz .LBB19_2
; %bb.44:                               ;   in Loop: Header=BB19_4 Depth=1
	v_mul_lo_u32 v16, s59, v8
	v_mul_lo_u32 v17, s60, v9
	v_mad_u64_u32 v[14:15], s[2:3], s60, v8, 0
	v_add3_u32 v15, v15, v17, v16
	v_mul_lo_u32 v20, v13, s24
	v_mul_lo_u32 v21, v12, s25
	v_mad_u64_u32 v[16:17], s[2:3], v12, s24, 0
	v_add3_u32 v17, v17, v21, v20
	v_lshl_add_u64 v[14:15], v[14:15], 1, s[6:7]
	v_lshl_add_u64 v[14:15], v[16:17], 1, v[14:15]
	;; [unrolled: 1-line block ×3, first 2 shown]
	global_load_ushort v10, v[10:11], off
	s_waitcnt vmcnt(0)
	v_add_f16_e32 v26, v26, v10
	s_branch .LBB19_2
.LBB19_45:                              ;   in Loop: Header=BB19_4 Depth=1
	s_mov_b64 s[0:1], 0
                                        ; implicit-def: $vgpr20_vgpr21
	s_and_saveexec_b64 s[52:53], s[2:3]
	s_xor_b64 s[52:53], exec, s[52:53]
	s_cbranch_execz .LBB19_47
; %bb.46:                               ;   in Loop: Header=BB19_4 Depth=1
	v_mad_u64_u32 v[30:31], s[0:1], s10, v10, v[14:15]
	v_mul_lo_u32 v29, s10, v11
	v_mul_lo_u32 v32, s11, v10
	v_mov_b32_e32 v21, s62
	v_sub_co_u32_e32 v20, vcc, s61, v27
	v_add3_u32 v31, v32, v31, v29
	s_nop 0
	v_subb_co_u32_e32 v21, vcc, v21, v28, vcc
	v_lshl_add_u64 v[30:31], v[30:31], 0, 2
	v_lshl_add_u64 v[20:21], v[20:21], 0, v[22:23]
	v_mul_lo_u32 v29, s8, v31
	v_mul_lo_u32 v31, s9, v30
	v_mad_u64_u32 v[22:23], s[0:1], s8, v30, v[22:23]
	v_add3_u32 v23, v31, v23, v29
	v_lshl_add_u64 v[30:31], s[20:21], 0, v[4:5]
	v_lshl_add_u64 v[22:23], v[30:31], 0, v[22:23]
	v_lshl_add_u64 v[22:23], v[22:23], 0, -2
	v_cmp_lt_i64_e32 vcc, -1, v[22:23]
	v_cmp_gt_i64_e64 s[0:1], s[24:25], v[22:23]
	s_and_b64 s[0:1], vcc, s[0:1]
	s_and_b64 s[0:1], s[0:1], exec
.LBB19_47:                              ;   in Loop: Header=BB19_4 Depth=1
	s_or_b64 exec, exec, s[52:53]
	s_and_b64 s[52:53], s[0:1], exec
                                        ; implicit-def: $vgpr22_vgpr23
	s_andn2_saveexec_b64 s[50:51], s[50:51]
	s_cbranch_execz .LBB19_25
.LBB19_48:                              ;   in Loop: Header=BB19_4 Depth=1
	v_sub_co_u32_e32 v20, vcc, v22, v16
	s_andn2_b64 s[52:53], s[52:53], exec
	s_nop 0
	v_subb_co_u32_e32 v21, vcc, v23, v17, vcc
	v_lshl_add_u64 v[22:23], s[20:21], 0, v[4:5]
	v_lshl_add_u64 v[20:21], v[22:23], 0, v[20:21]
	v_cmp_lt_i64_e32 vcc, -1, v[20:21]
	v_cmp_gt_i64_e64 s[0:1], s[24:25], v[20:21]
	s_and_b64 s[0:1], vcc, s[0:1]
	s_and_b64 s[0:1], s[0:1], exec
	s_or_b64 s[52:53], s[52:53], s[0:1]
	s_or_b64 exec, exec, s[50:51]
	s_and_saveexec_b64 s[0:1], s[52:53]
	s_cbranch_execnz .LBB19_26
	s_branch .LBB19_27
.LBB19_49:                              ;   in Loop: Header=BB19_4 Depth=1
	s_mov_b64 s[0:1], 0
                                        ; implicit-def: $vgpr18_vgpr19
	s_and_saveexec_b64 s[52:53], s[2:3]
	s_xor_b64 s[52:53], exec, s[52:53]
	s_cbranch_execz .LBB19_51
; %bb.50:                               ;   in Loop: Header=BB19_4 Depth=1
	v_lshl_add_u64 v[18:19], s[12:13], 0, v[20:21]
	v_sub_co_u32_e32 v18, vcc, v18, v27
	v_mad_u64_u32 v[22:23], s[0:1], s10, v10, v[14:15]
	s_nop 0
	v_subb_co_u32_e32 v19, vcc, v19, v28, vcc
	v_mul_lo_u32 v27, s10, v11
	v_mul_lo_u32 v28, s11, v10
	v_add3_u32 v23, v28, v23, v27
	v_lshl_add_u64 v[22:23], v[22:23], 0, 2
	v_mul_lo_u32 v23, s8, v23
	v_mul_lo_u32 v27, s9, v22
	v_mad_u64_u32 v[20:21], s[0:1], s8, v22, v[20:21]
	v_add3_u32 v21, v27, v21, v23
	v_lshl_add_u64 v[22:23], s[20:21], 0, v[4:5]
	v_lshl_add_u64 v[20:21], v[22:23], 0, v[20:21]
	v_lshl_add_u64 v[20:21], v[20:21], 0, -2
	v_cmp_lt_i64_e32 vcc, -1, v[20:21]
	v_cmp_gt_i64_e64 s[0:1], s[24:25], v[20:21]
	s_and_b64 s[0:1], vcc, s[0:1]
	s_and_b64 s[0:1], s[0:1], exec
.LBB19_51:                              ;   in Loop: Header=BB19_4 Depth=1
	s_or_b64 exec, exec, s[52:53]
	s_and_b64 s[52:53], s[0:1], exec
                                        ; implicit-def: $vgpr20_vgpr21
	s_andn2_saveexec_b64 s[50:51], s[50:51]
	s_cbranch_execz .LBB19_33
.LBB19_52:                              ;   in Loop: Header=BB19_4 Depth=1
	v_sub_co_u32_e32 v18, vcc, v20, v16
	s_andn2_b64 s[52:53], s[52:53], exec
	s_nop 0
	v_subb_co_u32_e32 v19, vcc, v21, v17, vcc
	v_lshl_add_u64 v[20:21], s[20:21], 0, v[4:5]
	v_lshl_add_u64 v[18:19], v[20:21], 0, v[18:19]
	v_cmp_lt_i64_e32 vcc, -1, v[18:19]
	v_cmp_gt_i64_e64 s[0:1], s[24:25], v[18:19]
	s_and_b64 s[0:1], vcc, s[0:1]
	s_and_b64 s[0:1], s[0:1], exec
	s_or_b64 s[52:53], s[52:53], s[0:1]
	s_or_b64 exec, exec, s[50:51]
	s_and_saveexec_b64 s[0:1], s[52:53]
	s_cbranch_execnz .LBB19_34
	s_branch .LBB19_35
.LBB19_53:
	s_endpgm
	.section	.rodata,"a",@progbits
	.p2align	6, 0x0
	.amdhsa_kernel _ZN2at6native12_GLOBAL__N_140reflection_pad2d_backward_det_out_kernelIN3c104HalfEEEvPT_PKS5_lliiiiiii
		.amdhsa_group_segment_fixed_size 0
		.amdhsa_private_segment_fixed_size 0
		.amdhsa_kernarg_size 320
		.amdhsa_user_sgpr_count 2
		.amdhsa_user_sgpr_dispatch_ptr 0
		.amdhsa_user_sgpr_queue_ptr 0
		.amdhsa_user_sgpr_kernarg_segment_ptr 1
		.amdhsa_user_sgpr_dispatch_id 0
		.amdhsa_user_sgpr_kernarg_preload_length 0
		.amdhsa_user_sgpr_kernarg_preload_offset 0
		.amdhsa_user_sgpr_private_segment_size 0
		.amdhsa_uses_dynamic_stack 0
		.amdhsa_enable_private_segment 0
		.amdhsa_system_sgpr_workgroup_id_x 1
		.amdhsa_system_sgpr_workgroup_id_y 0
		.amdhsa_system_sgpr_workgroup_id_z 0
		.amdhsa_system_sgpr_workgroup_info 0
		.amdhsa_system_vgpr_workitem_id 0
		.amdhsa_next_free_vgpr 36
		.amdhsa_next_free_sgpr 72
		.amdhsa_accum_offset 36
		.amdhsa_reserve_vcc 1
		.amdhsa_float_round_mode_32 0
		.amdhsa_float_round_mode_16_64 0
		.amdhsa_float_denorm_mode_32 3
		.amdhsa_float_denorm_mode_16_64 3
		.amdhsa_dx10_clamp 1
		.amdhsa_ieee_mode 1
		.amdhsa_fp16_overflow 0
		.amdhsa_tg_split 0
		.amdhsa_exception_fp_ieee_invalid_op 0
		.amdhsa_exception_fp_denorm_src 0
		.amdhsa_exception_fp_ieee_div_zero 0
		.amdhsa_exception_fp_ieee_overflow 0
		.amdhsa_exception_fp_ieee_underflow 0
		.amdhsa_exception_fp_ieee_inexact 0
		.amdhsa_exception_int_div_zero 0
	.end_amdhsa_kernel
	.section	.text._ZN2at6native12_GLOBAL__N_140reflection_pad2d_backward_det_out_kernelIN3c104HalfEEEvPT_PKS5_lliiiiiii,"axG",@progbits,_ZN2at6native12_GLOBAL__N_140reflection_pad2d_backward_det_out_kernelIN3c104HalfEEEvPT_PKS5_lliiiiiii,comdat
.Lfunc_end19:
	.size	_ZN2at6native12_GLOBAL__N_140reflection_pad2d_backward_det_out_kernelIN3c104HalfEEEvPT_PKS5_lliiiiiii, .Lfunc_end19-_ZN2at6native12_GLOBAL__N_140reflection_pad2d_backward_det_out_kernelIN3c104HalfEEEvPT_PKS5_lliiiiiii
                                        ; -- End function
	.set _ZN2at6native12_GLOBAL__N_140reflection_pad2d_backward_det_out_kernelIN3c104HalfEEEvPT_PKS5_lliiiiiii.num_vgpr, 36
	.set _ZN2at6native12_GLOBAL__N_140reflection_pad2d_backward_det_out_kernelIN3c104HalfEEEvPT_PKS5_lliiiiiii.num_agpr, 0
	.set _ZN2at6native12_GLOBAL__N_140reflection_pad2d_backward_det_out_kernelIN3c104HalfEEEvPT_PKS5_lliiiiiii.numbered_sgpr, 72
	.set _ZN2at6native12_GLOBAL__N_140reflection_pad2d_backward_det_out_kernelIN3c104HalfEEEvPT_PKS5_lliiiiiii.num_named_barrier, 0
	.set _ZN2at6native12_GLOBAL__N_140reflection_pad2d_backward_det_out_kernelIN3c104HalfEEEvPT_PKS5_lliiiiiii.private_seg_size, 0
	.set _ZN2at6native12_GLOBAL__N_140reflection_pad2d_backward_det_out_kernelIN3c104HalfEEEvPT_PKS5_lliiiiiii.uses_vcc, 1
	.set _ZN2at6native12_GLOBAL__N_140reflection_pad2d_backward_det_out_kernelIN3c104HalfEEEvPT_PKS5_lliiiiiii.uses_flat_scratch, 0
	.set _ZN2at6native12_GLOBAL__N_140reflection_pad2d_backward_det_out_kernelIN3c104HalfEEEvPT_PKS5_lliiiiiii.has_dyn_sized_stack, 0
	.set _ZN2at6native12_GLOBAL__N_140reflection_pad2d_backward_det_out_kernelIN3c104HalfEEEvPT_PKS5_lliiiiiii.has_recursion, 0
	.set _ZN2at6native12_GLOBAL__N_140reflection_pad2d_backward_det_out_kernelIN3c104HalfEEEvPT_PKS5_lliiiiiii.has_indirect_call, 0
	.section	.AMDGPU.csdata,"",@progbits
; Kernel info:
; codeLenInByte = 5856
; TotalNumSgprs: 78
; NumVgprs: 36
; NumAgprs: 0
; TotalNumVgprs: 36
; ScratchSize: 0
; MemoryBound: 0
; FloatMode: 240
; IeeeMode: 1
; LDSByteSize: 0 bytes/workgroup (compile time only)
; SGPRBlocks: 9
; VGPRBlocks: 4
; NumSGPRsForWavesPerEU: 78
; NumVGPRsForWavesPerEU: 36
; AccumOffset: 36
; Occupancy: 8
; WaveLimiterHint : 0
; COMPUTE_PGM_RSRC2:SCRATCH_EN: 0
; COMPUTE_PGM_RSRC2:USER_SGPR: 2
; COMPUTE_PGM_RSRC2:TRAP_HANDLER: 0
; COMPUTE_PGM_RSRC2:TGID_X_EN: 1
; COMPUTE_PGM_RSRC2:TGID_Y_EN: 0
; COMPUTE_PGM_RSRC2:TGID_Z_EN: 0
; COMPUTE_PGM_RSRC2:TIDIG_COMP_CNT: 0
; COMPUTE_PGM_RSRC3_GFX90A:ACCUM_OFFSET: 8
; COMPUTE_PGM_RSRC3_GFX90A:TG_SPLIT: 0
	.section	.text._ZN2at6native12_GLOBAL__N_136reflection_pad2d_backward_out_kernelIN3c104HalfEEEvPT_PKS5_lliiiiiii,"axG",@progbits,_ZN2at6native12_GLOBAL__N_136reflection_pad2d_backward_out_kernelIN3c104HalfEEEvPT_PKS5_lliiiiiii,comdat
	.globl	_ZN2at6native12_GLOBAL__N_136reflection_pad2d_backward_out_kernelIN3c104HalfEEEvPT_PKS5_lliiiiiii ; -- Begin function _ZN2at6native12_GLOBAL__N_136reflection_pad2d_backward_out_kernelIN3c104HalfEEEvPT_PKS5_lliiiiiii
	.p2align	8
	.type	_ZN2at6native12_GLOBAL__N_136reflection_pad2d_backward_out_kernelIN3c104HalfEEEvPT_PKS5_lliiiiiii,@function
_ZN2at6native12_GLOBAL__N_136reflection_pad2d_backward_out_kernelIN3c104HalfEEEvPT_PKS5_lliiiiiii: ; @_ZN2at6native12_GLOBAL__N_136reflection_pad2d_backward_out_kernelIN3c104HalfEEEvPT_PKS5_lliiiiiii
; %bb.0:
	s_load_dword s5, s[0:1], 0x4c
	s_load_dwordx4 s[16:19], s[0:1], 0x20
	s_load_dwordx8 s[8:15], s[0:1], 0x0
	v_mov_b32_e32 v1, 0
	s_waitcnt lgkmcnt(0)
	s_and_b32 s5, s5, 0xffff
	s_ashr_i32 s7, s18, 31
	s_mul_i32 s2, s2, s5
	s_add_u32 s5, s12, s18
	s_mov_b32 s6, s18
	s_addc_u32 s30, s13, s7
	s_ashr_i32 s18, s19, 31
	v_add_u32_e32 v0, s2, v0
	s_add_u32 s2, s5, s19
	s_addc_u32 s21, s30, s18
	s_ashr_i32 s23, s16, 31
	s_add_u32 s34, s14, s16
	s_mov_b32 s22, s16
	s_addc_u32 s35, s15, s23
	s_ashr_i32 s16, s17, 31
	s_add_u32 s31, s34, s17
	s_addc_u32 s33, s35, s16
	s_mul_i32 s16, s2, s33
	s_mul_hi_u32 s17, s2, s31
	s_add_i32 s16, s17, s16
	s_mul_i32 s17, s21, s31
	s_add_i32 s17, s16, s17
	s_mul_i32 s16, s2, s31
	v_cmp_gt_i64_e32 vcc, s[16:17], v[0:1]
	s_and_saveexec_b64 s[16:17], vcc
	s_cbranch_execz .LBB20_10
; %bb.1:
	s_load_dwordx4 s[16:19], s[0:1], 0x30
	s_mov_b32 s20, 0
	s_cmp_lg_u64 s[20:21], 0
	s_cbranch_scc0 .LBB20_11
; %bb.2:
	s_ashr_i32 s24, s21, 31
	s_add_u32 s0, s2, s24
	s_mov_b32 s25, s24
	s_addc_u32 s1, s21, s24
	s_xor_b64 s[28:29], s[0:1], s[24:25]
	v_cvt_f32_u32_e32 v2, s28
	v_cvt_f32_u32_e32 v3, s29
	s_waitcnt lgkmcnt(0)
	s_sub_u32 s19, 0, s28
	s_subb_u32 s20, 0, s29
	v_lshl_add_u64 v[4:5], v[0:1], 0, 0
	v_fmamk_f32 v2, v3, 0x4f800000, v2
	v_rcp_f32_e32 v2, v2
	s_nop 0
	v_mul_f32_e32 v2, 0x5f7ffffc, v2
	v_mul_f32_e32 v3, 0x2f800000, v2
	v_trunc_f32_e32 v3, v3
	v_fmamk_f32 v2, v3, 0xcf800000, v2
	v_cvt_u32_f32_e32 v3, v3
	v_cvt_u32_f32_e32 v2, v2
	v_readfirstlane_b32 s25, v3
	v_readfirstlane_b32 s0, v2
	s_mul_i32 s1, s19, s25
	s_mul_hi_u32 s37, s19, s0
	s_mul_i32 s36, s20, s0
	s_add_i32 s1, s37, s1
	s_add_i32 s1, s1, s36
	s_mul_i32 s38, s19, s0
	s_mul_i32 s37, s0, s1
	s_mul_hi_u32 s39, s0, s38
	s_mul_hi_u32 s36, s0, s1
	s_add_u32 s37, s39, s37
	s_addc_u32 s36, 0, s36
	s_mul_hi_u32 s40, s25, s38
	s_mul_i32 s38, s25, s38
	s_add_u32 s37, s37, s38
	s_mul_hi_u32 s39, s25, s1
	s_addc_u32 s36, s36, s40
	s_addc_u32 s37, s39, 0
	s_mul_i32 s1, s25, s1
	s_add_u32 s1, s36, s1
	s_addc_u32 s36, 0, s37
	s_add_u32 s37, s0, s1
	s_cselect_b64 s[0:1], -1, 0
	s_cmp_lg_u64 s[0:1], 0
	s_addc_u32 s25, s25, s36
	s_mul_i32 s0, s19, s25
	s_mul_hi_u32 s1, s19, s37
	s_add_i32 s0, s1, s0
	s_mul_i32 s20, s20, s37
	s_add_i32 s0, s0, s20
	s_mul_i32 s19, s19, s37
	s_mul_hi_u32 s20, s25, s19
	s_mul_i32 s36, s25, s19
	s_mul_i32 s39, s37, s0
	s_mul_hi_u32 s19, s37, s19
	s_mul_hi_u32 s38, s37, s0
	s_add_u32 s19, s19, s39
	s_addc_u32 s38, 0, s38
	s_add_u32 s19, s19, s36
	s_mul_hi_u32 s1, s25, s0
	s_addc_u32 s19, s38, s20
	s_addc_u32 s1, s1, 0
	s_mul_i32 s0, s25, s0
	s_add_u32 s0, s19, s0
	s_addc_u32 s19, 0, s1
	s_add_u32 s20, s37, s0
	s_cselect_b64 s[0:1], -1, 0
	s_cmp_lg_u64 s[0:1], 0
	s_addc_u32 s19, s25, s19
	v_mov_b32_e32 v3, 0
	v_mad_u64_u32 v[6:7], s[0:1], v4, s19, 0
	v_mul_hi_u32 v2, v4, s20
	v_lshl_add_u64 v[6:7], v[2:3], 0, v[6:7]
	v_mad_u64_u32 v[10:11], s[0:1], v5, s20, 0
	v_add_co_u32_e32 v1, vcc, v6, v10
	v_mad_u64_u32 v[8:9], s[0:1], v5, s19, 0
	s_nop 0
	v_addc_co_u32_e32 v2, vcc, v7, v11, vcc
	s_nop 1
	v_addc_co_u32_e32 v9, vcc, 0, v9, vcc
	v_lshl_add_u64 v[2:3], v[2:3], 0, v[8:9]
	v_mul_lo_u32 v1, s29, v2
	v_mul_lo_u32 v8, s28, v3
	v_mad_u64_u32 v[6:7], s[0:1], s28, v2, 0
	v_add3_u32 v1, v7, v8, v1
	v_sub_u32_e32 v7, v5, v1
	v_mov_b32_e32 v8, s29
	v_sub_co_u32_e32 v4, vcc, v4, v6
	s_nop 1
	v_subb_co_u32_e64 v6, s[0:1], v7, v8, vcc
	v_subrev_co_u32_e64 v7, s[0:1], s28, v4
	v_subb_co_u32_e32 v1, vcc, v5, v1, vcc
	s_nop 0
	v_subbrev_co_u32_e64 v6, s[0:1], 0, v6, s[0:1]
	v_cmp_le_u32_e64 s[0:1], s29, v6
	v_cmp_le_u32_e32 vcc, s29, v1
	s_nop 0
	v_cndmask_b32_e64 v8, 0, -1, s[0:1]
	v_cmp_le_u32_e64 s[0:1], s28, v7
	v_cndmask_b32_e64 v5, 0, -1, vcc
	v_cmp_le_u32_e32 vcc, s28, v4
	v_cndmask_b32_e64 v7, 0, -1, s[0:1]
	v_cmp_eq_u32_e64 s[0:1], s29, v6
	v_cndmask_b32_e64 v4, 0, -1, vcc
	v_cmp_eq_u32_e32 vcc, s29, v1
	v_cndmask_b32_e64 v10, v8, v7, s[0:1]
	v_lshl_add_u64 v[6:7], v[2:3], 0, 2
	v_lshl_add_u64 v[8:9], v[2:3], 0, 1
	v_cmp_ne_u32_e64 s[0:1], 0, v10
	v_cndmask_b32_e32 v1, v5, v4, vcc
	v_cmp_ne_u32_e32 vcc, 0, v1
	v_cndmask_b32_e64 v7, v9, v7, s[0:1]
	s_nop 0
	v_cndmask_b32_e32 v1, v3, v7, vcc
	v_cndmask_b32_e64 v3, v8, v6, s[0:1]
	v_cndmask_b32_e32 v2, v2, v3, vcc
	v_xor_b32_e32 v2, s24, v2
	v_xor_b32_e32 v1, s24, v1
	v_mov_b32_e32 v3, s24
	v_subrev_co_u32_e32 v2, vcc, s24, v2
	s_nop 1
	v_subb_co_u32_e32 v3, vcc, v1, v3, vcc
	s_cbranch_execnz .LBB20_4
.LBB20_3:
	v_cvt_f32_u32_e32 v1, s2
	s_sub_i32 s0, 0, s2
	v_rcp_iflag_f32_e32 v1, v1
	s_nop 0
	v_mul_f32_e32 v1, 0x4f7ffffe, v1
	v_cvt_u32_f32_e32 v1, v1
	v_mul_lo_u32 v2, s0, v1
	v_mul_hi_u32 v2, v1, v2
	v_add_u32_e32 v1, v1, v2
	v_mul_hi_u32 v1, v0, v1
	v_mul_lo_u32 v2, v1, s2
	v_sub_u32_e32 v2, v0, v2
	v_add_u32_e32 v3, 1, v1
	v_subrev_u32_e32 v4, s2, v2
	v_cmp_le_u32_e32 vcc, s2, v2
	s_nop 1
	v_cndmask_b32_e32 v2, v2, v4, vcc
	v_cndmask_b32_e32 v1, v1, v3, vcc
	v_add_u32_e32 v3, 1, v1
	v_cmp_le_u32_e32 vcc, s2, v2
	s_nop 1
	v_cndmask_b32_e32 v2, v1, v3, vcc
	v_mov_b32_e32 v3, 0
.LBB20_4:
	v_mov_b32_e32 v4, s8
	v_mov_b32_e32 v5, s9
	v_mul_lo_u32 v1, v3, s2
	v_mul_lo_u32 v10, v2, s21
	v_mad_u64_u32 v[8:9], s[8:9], v2, s2, 0
	v_add3_u32 v1, v9, v10, v1
	v_sub_co_u32_e32 v0, vcc, v0, v8
	v_mov_b32_e32 v8, s7
	s_nop 0
	v_subb_co_u32_e32 v1, vcc, 0, v1, vcc
	v_subrev_co_u32_e32 v9, vcc, s6, v0
	s_sub_u32 s0, 0, s22
	s_nop 0
	v_subb_co_u32_e32 v8, vcc, v1, v8, vcc
	v_ashrrev_i32_e32 v10, 31, v8
	v_xor_b32_e32 v11, v8, v10
	v_xor_b32_e32 v8, v9, v10
	s_subb_u32 s1, 0, s23
	v_sub_co_u32_e32 v8, vcc, v8, v10
	s_sub_u32 s24, 0, s6
	s_nop 0
	v_subb_co_u32_e32 v9, vcc, v11, v10, vcc
	s_subb_u32 s25, 0, s7
	s_waitcnt lgkmcnt(0)
	s_add_i32 s4, s17, s4
	v_mov_b32_e32 v11, s30
	v_subrev_co_u32_e32 v10, vcc, s5, v0
	s_add_i32 s3, s16, s3
	s_mul_i32 s4, s4, s18
	v_subb_co_u32_e32 v11, vcc, v1, v11, vcc
	s_add_i32 s3, s3, s4
	v_lshl_add_u64 v[10:11], v[10:11], 0, 1
	s_mul_i32 s4, s15, s3
	s_mul_hi_u32 s15, s14, s3
	v_ashrrev_i32_e32 v12, 31, v11
	s_add_i32 s15, s15, s4
	v_cmp_gt_i64_e64 s[8:9], s[24:25], 0
	v_xor_b32_e32 v10, v10, v12
	s_and_b64 s[8:9], s[8:9], exec
	v_xor_b32_e32 v11, v11, v12
	v_sub_co_u32_e32 v10, vcc, v10, v12
	v_cmp_gt_i64_e64 s[8:9], s[0:1], 0
	s_nop 0
	v_subb_co_u32_e32 v11, vcc, v11, v12, vcc
	v_mov_b32_e32 v6, s10
	v_mov_b32_e32 v7, s11
	s_cselect_b32 s10, s25, 0
	s_cselect_b32 s11, s24, 0
	s_and_b64 s[8:9], s[8:9], exec
	v_mov_b32_e32 v12, s23
	v_subrev_co_u32_e32 v13, vcc, s22, v2
	s_mul_i32 s4, s14, s3
	s_cselect_b32 s14, s1, 0
	s_cselect_b32 s16, s0, 0
	v_cmp_gt_i64_e64 s[0:1], s[6:7], 0
	v_subb_co_u32_e32 v12, vcc, v3, v12, vcc
	s_and_b64 s[0:1], s[0:1], exec
	v_cmp_gt_i64_e64 s[8:9], s[22:23], 0
	v_ashrrev_i32_e32 v14, 31, v12
	s_cselect_b32 s1, s7, 0
	s_cselect_b32 s0, s6, 0
	s_and_b64 s[8:9], s[8:9], exec
	v_xor_b32_e32 v15, v12, v14
	v_xor_b32_e32 v12, v13, v14
	s_cselect_b32 s9, s23, 0
	s_cselect_b32 s8, s22, 0
	v_sub_co_u32_e32 v12, vcc, v12, v14
	s_not_b64 s[8:9], s[8:9]
	s_nop 0
	v_subb_co_u32_e32 v13, vcc, v15, v14, vcc
	v_mov_b32_e32 v15, s35
	v_subrev_co_u32_e32 v14, vcc, s34, v2
	s_add_u32 s17, s34, s22
	s_nop 0
	v_subb_co_u32_e32 v15, vcc, v3, v15, vcc
	s_addc_u32 s18, s35, s23
	v_lshl_add_u64 v[14:15], v[14:15], 0, 1
	s_add_u32 s8, s17, s8
	v_ashrrev_i32_e32 v16, 31, v15
	s_addc_u32 s9, s18, s9
	v_xor_b32_e32 v14, v14, v16
	s_add_u32 s8, s8, s16
	v_xor_b32_e32 v15, v15, v16
	v_sub_co_u32_e32 v14, vcc, v14, v16
	s_addc_u32 s9, s9, s14
	s_nop 0
	v_subb_co_u32_e32 v15, vcc, v15, v16, vcc
	s_add_u32 s4, s8, s4
	s_addc_u32 s8, s9, s15
	v_lshl_add_u64 v[14:15], v[2:3], 0, v[14:15]
	v_mov_b32_e32 v16, s8
	v_sub_co_u32_e32 v14, vcc, s4, v14
	s_add_u32 s6, s5, s6
	s_nop 0
	v_subb_co_u32_e32 v15, vcc, v16, v15, vcc
	v_lshl_add_u64 v[12:13], v[14:15], 0, v[12:13]
	v_mul_lo_u32 v14, v13, s12
	v_mul_lo_u32 v15, v12, s13
	v_mad_u64_u32 v[12:13], s[8:9], v12, s12, 0
	s_addc_u32 s7, s30, s7
	s_not_b64 s[0:1], s[0:1]
	v_add3_u32 v13, v13, v15, v14
	v_mov_b32_e32 v14, s3
	s_add_u32 s0, s6, s0
	s_mul_i32 s33, s33, s3
	v_mad_u64_u32 v[2:3], s[4:5], s31, v14, v[2:3]
	s_addc_u32 s1, s7, s1
	v_add_u32_e32 v3, s33, v3
	s_add_u32 s0, s0, s11
	v_lshl_add_u64 v[10:11], v[0:1], 0, v[10:11]
	v_mul_lo_u32 v14, v3, s2
	v_mul_lo_u32 v15, v2, s21
	v_mad_u64_u32 v[2:3], s[2:3], v2, s2, 0
	s_addc_u32 s1, s1, s10
	v_add3_u32 v3, v3, v15, v14
	v_mov_b32_e32 v14, s1
	v_sub_co_u32_e32 v10, vcc, s0, v10
	v_lshl_add_u64 v[2:3], v[2:3], 1, v[6:7]
	s_nop 0
	v_subb_co_u32_e32 v11, vcc, v14, v11, vcc
	v_lshl_add_u64 v[4:5], v[10:11], 1, v[4:5]
	v_lshl_add_u64 v[4:5], v[8:9], 1, v[4:5]
	;; [unrolled: 1-line block ×4, first 2 shown]
	v_and_b32_e32 v6, 2, v8
	global_load_ushort v4, v[0:1], off
	v_sub_co_u32_e32 v0, vcc, 0, v6
	v_mov_b32_e32 v7, 0
	s_nop 0
	v_subb_co_u32_e64 v1, s[0:1], 0, 0, vcc
	v_lshl_add_u64 v[0:1], v[8:9], 0, v[0:1]
	global_load_dword v3, v[0:1], off
	s_mov_b64 s[4:5], 0
	v_cmp_eq_u64_e32 vcc, 0, v[6:7]
	v_cmp_ne_u32_e64 s[0:1], 0, v6
	s_mov_b32 s6, 0xffff0000
	s_branch .LBB20_6
.LBB20_5:                               ;   in Loop: Header=BB20_6 Depth=1
	s_or_b64 exec, exec, s[2:3]
	global_atomic_cmpswap v2, v[0:1], v[2:3], off sc0
	s_waitcnt vmcnt(0)
	v_cmp_eq_u32_e64 s[2:3], v3, v2
	s_or_b64 s[4:5], s[2:3], s[4:5]
	v_mov_b32_e32 v3, v2
	s_andn2_b64 exec, exec, s[4:5]
	s_cbranch_execz .LBB20_10
.LBB20_6:                               ; =>This Inner Loop Header: Depth=1
	s_waitcnt vmcnt(0)
	v_cndmask_b32_sdwa v2, v3, v3, vcc dst_sel:DWORD dst_unused:UNUSED_PAD src0_sel:WORD_1 src1_sel:DWORD
	v_add_f16_e32 v5, v4, v2
	s_and_saveexec_b64 s[2:3], s[0:1]
	s_xor_b64 s[2:3], exec, s[2:3]
; %bb.7:                                ;   in Loop: Header=BB20_6 Depth=1
	v_and_b32_e32 v2, 0xffff, v3
	v_lshl_or_b32 v2, v5, 16, v2
                                        ; implicit-def: $vgpr5
; %bb.8:                                ;   in Loop: Header=BB20_6 Depth=1
	s_andn2_saveexec_b64 s[2:3], s[2:3]
	s_cbranch_execz .LBB20_5
; %bb.9:                                ;   in Loop: Header=BB20_6 Depth=1
	v_and_or_b32 v2, v3, s6, v5
	s_branch .LBB20_5
.LBB20_10:
	s_endpgm
.LBB20_11:
                                        ; implicit-def: $vgpr2_vgpr3
	s_branch .LBB20_3
	.section	.rodata,"a",@progbits
	.p2align	6, 0x0
	.amdhsa_kernel _ZN2at6native12_GLOBAL__N_136reflection_pad2d_backward_out_kernelIN3c104HalfEEEvPT_PKS5_lliiiiiii
		.amdhsa_group_segment_fixed_size 0
		.amdhsa_private_segment_fixed_size 0
		.amdhsa_kernarg_size 320
		.amdhsa_user_sgpr_count 2
		.amdhsa_user_sgpr_dispatch_ptr 0
		.amdhsa_user_sgpr_queue_ptr 0
		.amdhsa_user_sgpr_kernarg_segment_ptr 1
		.amdhsa_user_sgpr_dispatch_id 0
		.amdhsa_user_sgpr_kernarg_preload_length 0
		.amdhsa_user_sgpr_kernarg_preload_offset 0
		.amdhsa_user_sgpr_private_segment_size 0
		.amdhsa_uses_dynamic_stack 0
		.amdhsa_enable_private_segment 0
		.amdhsa_system_sgpr_workgroup_id_x 1
		.amdhsa_system_sgpr_workgroup_id_y 1
		.amdhsa_system_sgpr_workgroup_id_z 1
		.amdhsa_system_sgpr_workgroup_info 0
		.amdhsa_system_vgpr_workitem_id 0
		.amdhsa_next_free_vgpr 17
		.amdhsa_next_free_sgpr 41
		.amdhsa_accum_offset 20
		.amdhsa_reserve_vcc 1
		.amdhsa_float_round_mode_32 0
		.amdhsa_float_round_mode_16_64 0
		.amdhsa_float_denorm_mode_32 3
		.amdhsa_float_denorm_mode_16_64 3
		.amdhsa_dx10_clamp 1
		.amdhsa_ieee_mode 1
		.amdhsa_fp16_overflow 0
		.amdhsa_tg_split 0
		.amdhsa_exception_fp_ieee_invalid_op 0
		.amdhsa_exception_fp_denorm_src 0
		.amdhsa_exception_fp_ieee_div_zero 0
		.amdhsa_exception_fp_ieee_overflow 0
		.amdhsa_exception_fp_ieee_underflow 0
		.amdhsa_exception_fp_ieee_inexact 0
		.amdhsa_exception_int_div_zero 0
	.end_amdhsa_kernel
	.section	.text._ZN2at6native12_GLOBAL__N_136reflection_pad2d_backward_out_kernelIN3c104HalfEEEvPT_PKS5_lliiiiiii,"axG",@progbits,_ZN2at6native12_GLOBAL__N_136reflection_pad2d_backward_out_kernelIN3c104HalfEEEvPT_PKS5_lliiiiiii,comdat
.Lfunc_end20:
	.size	_ZN2at6native12_GLOBAL__N_136reflection_pad2d_backward_out_kernelIN3c104HalfEEEvPT_PKS5_lliiiiiii, .Lfunc_end20-_ZN2at6native12_GLOBAL__N_136reflection_pad2d_backward_out_kernelIN3c104HalfEEEvPT_PKS5_lliiiiiii
                                        ; -- End function
	.set _ZN2at6native12_GLOBAL__N_136reflection_pad2d_backward_out_kernelIN3c104HalfEEEvPT_PKS5_lliiiiiii.num_vgpr, 17
	.set _ZN2at6native12_GLOBAL__N_136reflection_pad2d_backward_out_kernelIN3c104HalfEEEvPT_PKS5_lliiiiiii.num_agpr, 0
	.set _ZN2at6native12_GLOBAL__N_136reflection_pad2d_backward_out_kernelIN3c104HalfEEEvPT_PKS5_lliiiiiii.numbered_sgpr, 41
	.set _ZN2at6native12_GLOBAL__N_136reflection_pad2d_backward_out_kernelIN3c104HalfEEEvPT_PKS5_lliiiiiii.num_named_barrier, 0
	.set _ZN2at6native12_GLOBAL__N_136reflection_pad2d_backward_out_kernelIN3c104HalfEEEvPT_PKS5_lliiiiiii.private_seg_size, 0
	.set _ZN2at6native12_GLOBAL__N_136reflection_pad2d_backward_out_kernelIN3c104HalfEEEvPT_PKS5_lliiiiiii.uses_vcc, 1
	.set _ZN2at6native12_GLOBAL__N_136reflection_pad2d_backward_out_kernelIN3c104HalfEEEvPT_PKS5_lliiiiiii.uses_flat_scratch, 0
	.set _ZN2at6native12_GLOBAL__N_136reflection_pad2d_backward_out_kernelIN3c104HalfEEEvPT_PKS5_lliiiiiii.has_dyn_sized_stack, 0
	.set _ZN2at6native12_GLOBAL__N_136reflection_pad2d_backward_out_kernelIN3c104HalfEEEvPT_PKS5_lliiiiiii.has_recursion, 0
	.set _ZN2at6native12_GLOBAL__N_136reflection_pad2d_backward_out_kernelIN3c104HalfEEEvPT_PKS5_lliiiiiii.has_indirect_call, 0
	.section	.AMDGPU.csdata,"",@progbits
; Kernel info:
; codeLenInByte = 1680
; TotalNumSgprs: 47
; NumVgprs: 17
; NumAgprs: 0
; TotalNumVgprs: 17
; ScratchSize: 0
; MemoryBound: 0
; FloatMode: 240
; IeeeMode: 1
; LDSByteSize: 0 bytes/workgroup (compile time only)
; SGPRBlocks: 5
; VGPRBlocks: 2
; NumSGPRsForWavesPerEU: 47
; NumVGPRsForWavesPerEU: 17
; AccumOffset: 20
; Occupancy: 8
; WaveLimiterHint : 0
; COMPUTE_PGM_RSRC2:SCRATCH_EN: 0
; COMPUTE_PGM_RSRC2:USER_SGPR: 2
; COMPUTE_PGM_RSRC2:TRAP_HANDLER: 0
; COMPUTE_PGM_RSRC2:TGID_X_EN: 1
; COMPUTE_PGM_RSRC2:TGID_Y_EN: 1
; COMPUTE_PGM_RSRC2:TGID_Z_EN: 1
; COMPUTE_PGM_RSRC2:TIDIG_COMP_CNT: 0
; COMPUTE_PGM_RSRC3_GFX90A:ACCUM_OFFSET: 4
; COMPUTE_PGM_RSRC3_GFX90A:TG_SPLIT: 0
	.section	.text._ZN2at6native12_GLOBAL__N_140reflection_pad2d_backward_det_out_kernelIN3c108BFloat16EEEvPT_PKS5_lliiiiiii,"axG",@progbits,_ZN2at6native12_GLOBAL__N_140reflection_pad2d_backward_det_out_kernelIN3c108BFloat16EEEvPT_PKS5_lliiiiiii,comdat
	.globl	_ZN2at6native12_GLOBAL__N_140reflection_pad2d_backward_det_out_kernelIN3c108BFloat16EEEvPT_PKS5_lliiiiiii ; -- Begin function _ZN2at6native12_GLOBAL__N_140reflection_pad2d_backward_det_out_kernelIN3c108BFloat16EEEvPT_PKS5_lliiiiiii
	.p2align	8
	.type	_ZN2at6native12_GLOBAL__N_140reflection_pad2d_backward_det_out_kernelIN3c108BFloat16EEEvPT_PKS5_lliiiiiii,@function
_ZN2at6native12_GLOBAL__N_140reflection_pad2d_backward_det_out_kernelIN3c108BFloat16EEEvPT_PKS5_lliiiiiii: ; @_ZN2at6native12_GLOBAL__N_140reflection_pad2d_backward_det_out_kernelIN3c108BFloat16EEEvPT_PKS5_lliiiiiii
; %bb.0:
	s_load_dword s3, s[0:1], 0x4c
	s_load_dwordx2 s[12:13], s[0:1], 0x30
	s_load_dwordx8 s[4:11], s[0:1], 0x0
	s_add_u32 s20, s0, 64
	s_addc_u32 s21, s1, 0
	s_waitcnt lgkmcnt(0)
	s_and_b32 s3, s3, 0xffff
	s_mul_i32 s2, s2, s3
	s_mul_i32 s14, s10, s9
	s_mul_hi_u32 s15, s10, s8
	v_add_u32_e32 v0, s2, v0
	s_ashr_i32 s2, s12, 31
	s_add_i32 s33, s15, s14
	s_mul_i32 s14, s11, s8
	s_mul_i32 s54, s10, s8
	s_add_i32 s33, s33, s14
	s_mul_i32 s2, s54, s2
	s_mul_hi_u32 s15, s54, s12
	s_ashr_i32 s17, s13, 31
	s_mul_i32 s14, s33, s12
	s_add_i32 s2, s15, s2
	s_mul_i32 s12, s54, s12
	s_add_i32 s2, s2, s14
	s_mul_i32 s14, s12, s17
	s_mul_hi_u32 s15, s12, s13
	v_mov_b32_e32 v2, 0
	s_mul_i32 s2, s2, s13
	s_add_i32 s14, s15, s14
	v_mov_b32_e32 v1, v2
	s_add_i32 s19, s14, s2
	s_mul_i32 s18, s12, s13
	s_mov_b32 s16, s13
	v_cmp_gt_i64_e32 vcc, s[18:19], v[0:1]
	s_and_saveexec_b64 s[12:13], vcc
	s_cbranch_execz .LBB21_53
; %bb.1:
	s_load_dwordx4 s[12:15], s[0:1], 0x20
	s_load_dword s2, s[20:21], 0x0
	s_mul_i32 s58, s54, s16
	v_cvt_f32_u32_e32 v3, s58
	v_sub_co_u32_e32 v4, vcc, 0, v0
	s_waitcnt lgkmcnt(0)
	s_ashr_i32 s21, s14, 31
	s_add_u32 s30, s8, s14
	s_addc_u32 s31, s9, s21
	s_ashr_i32 s1, s15, 31
	s_add_u32 s55, s30, s15
	s_addc_u32 s56, s31, s1
	s_ashr_i32 s23, s12, 31
	s_mov_b32 s0, s15
	s_add_u32 s15, s10, s12
	s_addc_u32 s24, s11, s23
	s_ashr_i32 s35, s13, 31
	s_mov_b32 s34, s13
	s_add_u32 s13, s15, s13
	s_addc_u32 s15, s24, s35
	s_mul_i32 s15, s55, s15
	s_mul_hi_u32 s24, s55, s13
	s_add_i32 s15, s24, s15
	s_mul_i32 s24, s56, s13
	s_add_i32 s25, s15, s24
	s_add_u32 s28, s8, -1
	s_addc_u32 s29, s9, -1
	s_mul_i32 s24, s55, s13
	s_mul_hi_u32 s27, s3, s2
	s_mul_i32 s26, s3, s2
	s_add_u32 s13, s30, s28
	s_mul_i32 s2, s54, s17
	s_mul_hi_u32 s3, s54, s16
	s_addc_u32 s15, s31, s29
	s_add_i32 s2, s3, s2
	s_mul_i32 s3, s33, s16
	s_add_i32 s57, s2, s3
	s_add_u32 s30, s10, -1
	s_addc_u32 s31, s11, -1
	s_not_b64 s[2:3], s[34:35]
	s_add_u32 s34, s10, s2
	s_addc_u32 s35, s11, s3
	s_not_b64 s[0:1], s[0:1]
	s_add_u32 s36, s8, s0
	s_addc_u32 s37, s9, s1
	s_mul_i32 s0, s24, s17
	s_mul_hi_u32 s1, s24, s16
	s_add_i32 s0, s1, s0
	s_mul_i32 s1, s25, s16
	s_add_i32 s59, s0, s1
	s_add_u32 s61, s13, -1
	s_addc_u32 s62, s15, -1
	s_lshl_b64 s[0:1], s[30:31], 1
	s_add_u32 s63, s0, s12
	s_addc_u32 s64, s1, s23
	s_lshl_b64 s[0:1], s[28:29], 1
	v_rcp_iflag_f32_e32 v3, v3
	s_mov_b32 s22, s12
	s_add_u32 s12, s0, s14
	s_addc_u32 s13, s1, s21
	s_mov_b32 s20, s14
	s_sub_u32 s65, 0, s10
	v_subb_co_u32_e64 v5, s[0:1], 0, 0, vcc
	s_subb_u32 s66, 0, s11
	s_lshl_b64 s[38:39], s[16:17], 1
	s_lshl_b64 s[40:41], s[8:9], 1
	s_lshl_b64 s[0:1], s[20:21], 1
	v_mul_f32_e32 v3, 0x4f7ffffe, v3
	s_add_u32 s42, s6, s0
	v_cvt_u32_f32_e32 v24, v3
	s_addc_u32 s43, s7, s1
	s_lshl_b64 s[44:45], s[26:27], 1
	s_sub_u32 s67, 0, s54
	s_mul_i32 s60, s24, s16
	s_mov_b64 s[14:15], 0
	v_lshlrev_b64 v[6:7], 1, v[0:1]
	s_subb_u32 s68, 0, s33
	s_movk_i32 s69, 0x7fff
	v_mov_b32_e32 v25, 0x7fc0
	v_mov_b32_e32 v26, 0x7fc00000
	s_branch .LBB21_4
.LBB21_2:                               ;   in Loop: Header=BB21_4 Depth=1
	s_or_b64 exec, exec, s[0:1]
.LBB21_3:                               ;   in Loop: Header=BB21_4 Depth=1
	s_or_b64 exec, exec, s[46:47]
	v_lshlrev_b64 v[10:11], 1, v[12:13]
	v_mul_lo_u32 v12, s38, v9
	v_mul_lo_u32 v13, s39, v8
	v_mad_u64_u32 v[8:9], s[0:1], s38, v8, v[10:11]
	v_add3_u32 v9, v13, v9, v12
	v_mul_lo_u32 v12, s41, v3
	v_mul_lo_u32 v13, s40, v27
	v_mad_u64_u32 v[10:11], s[0:1], s40, v3, 0
	v_add3_u32 v11, v11, v13, v12
	v_mul_lo_u32 v3, s24, v9
	v_mad_u64_u32 v[10:11], s[0:1], s24, v8, v[10:11]
	v_mul_lo_u32 v8, s25, v8
	v_add3_u32 v11, v8, v11, v3
	v_lshl_add_u64 v[8:9], v[18:19], 1, v[10:11]
	v_lshl_add_u64 v[8:9], v[6:7], 0, v[8:9]
	;; [unrolled: 1-line block ×4, first 2 shown]
	global_load_ushort v3, v[10:11], off
	s_nop 0
	global_load_ushort v8, v[8:9], off
	v_lshlrev_b32_e32 v9, 16, v28
	v_mov_b32_e32 v12, s27
	v_subrev_co_u32_e32 v4, vcc, s26, v4
	v_lshl_add_u64 v[0:1], v[0:1], 0, s[26:27]
	s_nop 0
	v_subb_co_u32_e32 v5, vcc, v5, v12, vcc
	v_cmp_le_i64_e32 vcc, s[18:19], v[0:1]
	s_or_b64 s[14:15], vcc, s[14:15]
	v_lshl_add_u64 v[6:7], v[6:7], 0, s[44:45]
	s_waitcnt vmcnt(1)
	v_lshlrev_b32_e32 v3, 16, v3
	s_waitcnt vmcnt(0)
	v_lshlrev_b32_e32 v8, 16, v8
	v_add_f32_e32 v8, v8, v9
	v_bfe_u32 v9, v8, 16, 1
	v_add3_u32 v9, v8, v9, s69
	v_and_b32_e32 v9, 0xffff0000, v9
	v_cmp_o_f32_e32 vcc, v8, v8
	s_nop 1
	v_cndmask_b32_e32 v8, v26, v9, vcc
	v_add_f32_e32 v3, v8, v3
	v_bfe_u32 v8, v3, 16, 1
	v_add3_u32 v8, v3, v8, s69
	v_lshrrev_b32_e32 v8, 16, v8
	v_cmp_o_f32_e32 vcc, v3, v3
	s_nop 1
	v_cndmask_b32_e32 v3, v25, v8, vcc
	global_store_short v[10:11], v3, off
	s_andn2_b64 exec, exec, s[14:15]
	s_cbranch_execz .LBB21_53
.LBB21_4:                               ; =>This Inner Loop Header: Depth=1
	v_or_b32_e32 v3, s57, v1
	v_cmp_ne_u64_e32 vcc, 0, v[2:3]
	v_ashrrev_i32_e32 v12, 31, v1
                                        ; implicit-def: $vgpr8_vgpr9
	s_and_saveexec_b64 s[0:1], vcc
	s_xor_b64 s[2:3], exec, s[0:1]
	s_cbranch_execz .LBB21_6
; %bb.5:                                ;   in Loop: Header=BB21_4 Depth=1
	s_ashr_i32 s46, s57, 31
	s_add_u32 s0, s58, s46
	s_mov_b32 s47, s46
	s_addc_u32 s1, s57, s46
	s_xor_b64 s[48:49], s[0:1], s[46:47]
	v_cvt_f32_u32_e32 v3, s48
	v_cvt_f32_u32_e32 v8, s49
	s_sub_u32 s47, 0, s48
	s_subb_u32 s50, 0, s49
	v_mov_b32_e32 v13, v12
	v_fmac_f32_e32 v3, 0x4f800000, v8
	v_rcp_f32_e32 v3, v3
	v_mov_b32_e32 v11, v2
	v_mul_f32_e32 v3, 0x5f7ffffc, v3
	v_mul_f32_e32 v8, 0x2f800000, v3
	v_trunc_f32_e32 v8, v8
	v_fmac_f32_e32 v3, 0xcf800000, v8
	v_cvt_u32_f32_e32 v8, v8
	v_cvt_u32_f32_e32 v3, v3
	v_readfirstlane_b32 s51, v8
	v_readfirstlane_b32 s0, v3
	s_mul_i32 s1, s47, s51
	s_mul_hi_u32 s53, s47, s0
	s_mul_i32 s52, s50, s0
	s_add_i32 s1, s53, s1
	s_add_i32 s1, s1, s52
	s_mul_i32 s70, s47, s0
	s_mul_i32 s53, s0, s1
	s_mul_hi_u32 s71, s0, s70
	s_mul_hi_u32 s52, s0, s1
	s_add_u32 s53, s71, s53
	s_addc_u32 s52, 0, s52
	s_mul_hi_u32 s72, s51, s70
	s_mul_i32 s70, s51, s70
	s_add_u32 s53, s53, s70
	s_mul_hi_u32 s71, s51, s1
	s_addc_u32 s52, s52, s72
	s_addc_u32 s53, s71, 0
	s_mul_i32 s1, s51, s1
	s_add_u32 s1, s52, s1
	s_addc_u32 s52, 0, s53
	s_add_u32 s53, s0, s1
	s_cselect_b64 s[0:1], -1, 0
	s_cmp_lg_u64 s[0:1], 0
	s_addc_u32 s51, s51, s52
	s_mul_i32 s0, s47, s51
	s_mul_hi_u32 s1, s47, s53
	s_add_i32 s0, s1, s0
	s_mul_i32 s50, s50, s53
	s_add_i32 s0, s0, s50
	s_mul_i32 s47, s47, s53
	s_mul_hi_u32 s50, s51, s47
	s_mul_i32 s52, s51, s47
	s_mul_i32 s71, s53, s0
	s_mul_hi_u32 s47, s53, s47
	s_mul_hi_u32 s70, s53, s0
	s_add_u32 s47, s47, s71
	s_addc_u32 s70, 0, s70
	s_add_u32 s47, s47, s52
	s_mul_hi_u32 s1, s51, s0
	s_addc_u32 s47, s70, s50
	s_addc_u32 s1, s1, 0
	s_mul_i32 s0, s51, s0
	s_add_u32 s0, s47, s0
	s_addc_u32 s47, 0, s1
	s_add_u32 s50, s53, s0
	s_cselect_b64 s[0:1], -1, 0
	s_cmp_lg_u64 s[0:1], 0
	v_lshl_add_u64 v[8:9], v[0:1], 0, v[12:13]
	s_addc_u32 s47, s51, s47
	v_xor_b32_e32 v13, v8, v12
	v_xor_b32_e32 v3, v9, v12
	v_mad_u64_u32 v[8:9], s[0:1], v13, s47, 0
	v_mul_hi_u32 v10, v13, s50
	v_lshl_add_u64 v[8:9], v[10:11], 0, v[8:9]
	v_mad_u64_u32 v[14:15], s[0:1], v3, s50, 0
	v_add_co_u32_e32 v8, vcc, v8, v14
	v_mad_u64_u32 v[10:11], s[0:1], v3, s47, 0
	s_nop 0
	v_addc_co_u32_e32 v8, vcc, v9, v15, vcc
	v_mov_b32_e32 v9, v2
	s_nop 0
	v_addc_co_u32_e32 v11, vcc, 0, v11, vcc
	v_lshl_add_u64 v[8:9], v[8:9], 0, v[10:11]
	v_mul_lo_u32 v14, s49, v8
	v_mul_lo_u32 v15, s48, v9
	v_mad_u64_u32 v[10:11], s[0:1], s48, v8, 0
	v_add3_u32 v16, v11, v15, v14
	v_sub_u32_e32 v11, v3, v16
	v_mov_b32_e32 v14, s49
	v_sub_co_u32_e32 v13, vcc, v13, v10
	s_nop 1
	v_subb_co_u32_e64 v10, s[0:1], v11, v14, vcc
	v_subrev_co_u32_e64 v11, s[0:1], s48, v13
	v_subb_co_u32_e32 v3, vcc, v3, v16, vcc
	s_nop 0
	v_subbrev_co_u32_e64 v10, s[0:1], 0, v10, s[0:1]
	v_cmp_le_u32_e64 s[0:1], s49, v10
	v_cmp_le_u32_e32 vcc, s49, v3
	s_nop 0
	v_cndmask_b32_e64 v14, 0, -1, s[0:1]
	v_cmp_le_u32_e64 s[0:1], s48, v11
	s_nop 1
	v_cndmask_b32_e64 v11, 0, -1, s[0:1]
	v_cmp_eq_u32_e64 s[0:1], s49, v10
	s_nop 1
	v_cndmask_b32_e64 v17, v14, v11, s[0:1]
	v_lshl_add_u64 v[10:11], v[8:9], 0, 2
	v_lshl_add_u64 v[14:15], v[8:9], 0, 1
	v_cmp_ne_u32_e64 s[0:1], 0, v17
	s_nop 1
	v_cndmask_b32_e64 v11, v15, v11, s[0:1]
	v_cndmask_b32_e64 v15, 0, -1, vcc
	v_cmp_le_u32_e32 vcc, s48, v13
	s_nop 1
	v_cndmask_b32_e64 v13, 0, -1, vcc
	v_cmp_eq_u32_e32 vcc, s49, v3
	s_nop 1
	v_cndmask_b32_e32 v3, v15, v13, vcc
	v_cmp_ne_u32_e32 vcc, 0, v3
	s_nop 1
	v_cndmask_b32_e32 v3, v9, v11, vcc
	v_cndmask_b32_e64 v9, v14, v10, s[0:1]
	v_cndmask_b32_e32 v8, v8, v9, vcc
	v_xor_b32_e32 v9, s46, v12
	v_xor_b32_e32 v8, v8, v9
	;; [unrolled: 1-line block ×3, first 2 shown]
	v_sub_co_u32_e32 v8, vcc, v8, v9
	s_nop 1
	v_subb_co_u32_e32 v9, vcc, v3, v9, vcc
.LBB21_6:                               ;   in Loop: Header=BB21_4 Depth=1
	s_andn2_saveexec_b64 s[0:1], s[2:3]
	s_cbranch_execz .LBB21_8
; %bb.7:                                ;   in Loop: Header=BB21_4 Depth=1
	s_sub_i32 s2, 0, s58
	v_mul_lo_u32 v3, s2, v24
	v_mul_hi_u32 v3, v24, v3
	v_add_u32_e32 v3, v24, v3
	v_mul_hi_u32 v3, v0, v3
	v_mul_lo_u32 v8, v3, s58
	v_sub_u32_e32 v8, v0, v8
	v_subrev_u32_e32 v9, s58, v8
	v_cmp_le_u32_e32 vcc, s58, v8
	s_nop 1
	v_cndmask_b32_e32 v8, v8, v9, vcc
	v_add_u32_e32 v9, 1, v3
	v_cndmask_b32_e32 v3, v3, v9, vcc
	v_add_u32_e32 v9, 1, v3
	v_cmp_le_u32_e32 vcc, s58, v8
	s_nop 1
	v_cndmask_b32_e32 v8, v3, v9, vcc
	v_mov_b32_e32 v9, v2
.LBB21_8:                               ;   in Loop: Header=BB21_4 Depth=1
	s_or_b64 exec, exec, s[0:1]
	v_or_b32_e32 v3, s33, v1
	v_cmp_ne_u64_e32 vcc, 0, v[2:3]
                                        ; implicit-def: $vgpr10_vgpr11
	s_and_saveexec_b64 s[0:1], vcc
	s_xor_b64 s[2:3], exec, s[0:1]
	s_cbranch_execz .LBB21_10
; %bb.9:                                ;   in Loop: Header=BB21_4 Depth=1
	s_ashr_i32 s46, s33, 31
	s_add_u32 s0, s54, s46
	s_mov_b32 s47, s46
	s_addc_u32 s1, s33, s46
	s_xor_b64 s[48:49], s[0:1], s[46:47]
	v_cvt_f32_u32_e32 v3, s48
	v_cvt_f32_u32_e32 v10, s49
	s_sub_u32 s47, 0, s48
	s_subb_u32 s50, 0, s49
	v_mov_b32_e32 v13, v12
	v_fmac_f32_e32 v3, 0x4f800000, v10
	v_rcp_f32_e32 v3, v3
	v_mov_b32_e32 v15, v2
	v_mul_f32_e32 v3, 0x5f7ffffc, v3
	v_mul_f32_e32 v10, 0x2f800000, v3
	v_trunc_f32_e32 v10, v10
	v_fmac_f32_e32 v3, 0xcf800000, v10
	v_cvt_u32_f32_e32 v10, v10
	v_cvt_u32_f32_e32 v3, v3
	v_readfirstlane_b32 s51, v10
	v_readfirstlane_b32 s0, v3
	s_mul_i32 s1, s47, s51
	s_mul_hi_u32 s53, s47, s0
	s_mul_i32 s52, s50, s0
	s_add_i32 s1, s53, s1
	s_add_i32 s1, s1, s52
	s_mul_i32 s70, s47, s0
	s_mul_i32 s53, s0, s1
	s_mul_hi_u32 s71, s0, s70
	s_mul_hi_u32 s52, s0, s1
	s_add_u32 s53, s71, s53
	s_addc_u32 s52, 0, s52
	s_mul_hi_u32 s72, s51, s70
	s_mul_i32 s70, s51, s70
	s_add_u32 s53, s53, s70
	s_mul_hi_u32 s71, s51, s1
	s_addc_u32 s52, s52, s72
	s_addc_u32 s53, s71, 0
	s_mul_i32 s1, s51, s1
	s_add_u32 s1, s52, s1
	s_addc_u32 s52, 0, s53
	s_add_u32 s53, s0, s1
	s_cselect_b64 s[0:1], -1, 0
	s_cmp_lg_u64 s[0:1], 0
	s_addc_u32 s51, s51, s52
	s_mul_i32 s0, s47, s51
	s_mul_hi_u32 s1, s47, s53
	s_add_i32 s0, s1, s0
	s_mul_i32 s50, s50, s53
	s_add_i32 s0, s0, s50
	s_mul_i32 s47, s47, s53
	s_mul_hi_u32 s50, s51, s47
	s_mul_i32 s52, s51, s47
	s_mul_i32 s71, s53, s0
	s_mul_hi_u32 s47, s53, s47
	s_mul_hi_u32 s70, s53, s0
	s_add_u32 s47, s47, s71
	s_addc_u32 s70, 0, s70
	s_add_u32 s47, s47, s52
	s_mul_hi_u32 s1, s51, s0
	s_addc_u32 s47, s70, s50
	s_addc_u32 s1, s1, 0
	s_mul_i32 s0, s51, s0
	s_add_u32 s0, s47, s0
	s_addc_u32 s47, 0, s1
	s_add_u32 s50, s53, s0
	s_cselect_b64 s[0:1], -1, 0
	s_cmp_lg_u64 s[0:1], 0
	v_lshl_add_u64 v[10:11], v[0:1], 0, v[12:13]
	s_addc_u32 s47, s51, s47
	v_xor_b32_e32 v13, v10, v12
	v_xor_b32_e32 v3, v11, v12
	v_mad_u64_u32 v[10:11], s[0:1], v13, s47, 0
	v_mul_hi_u32 v14, v13, s50
	v_lshl_add_u64 v[10:11], v[14:15], 0, v[10:11]
	v_mad_u64_u32 v[16:17], s[0:1], v3, s50, 0
	v_add_co_u32_e32 v10, vcc, v10, v16
	v_mad_u64_u32 v[14:15], s[0:1], v3, s47, 0
	s_nop 0
	v_addc_co_u32_e32 v10, vcc, v11, v17, vcc
	v_mov_b32_e32 v11, v2
	s_nop 0
	v_addc_co_u32_e32 v15, vcc, 0, v15, vcc
	v_lshl_add_u64 v[10:11], v[10:11], 0, v[14:15]
	v_mul_lo_u32 v16, s49, v10
	v_mul_lo_u32 v17, s48, v11
	v_mad_u64_u32 v[14:15], s[0:1], s48, v10, 0
	v_add3_u32 v18, v15, v17, v16
	v_sub_u32_e32 v15, v3, v18
	v_mov_b32_e32 v16, s49
	v_sub_co_u32_e32 v13, vcc, v13, v14
	s_nop 1
	v_subb_co_u32_e64 v14, s[0:1], v15, v16, vcc
	v_subrev_co_u32_e64 v15, s[0:1], s48, v13
	v_subb_co_u32_e32 v3, vcc, v3, v18, vcc
	s_nop 0
	v_subbrev_co_u32_e64 v14, s[0:1], 0, v14, s[0:1]
	v_cmp_le_u32_e64 s[0:1], s49, v14
	v_cmp_le_u32_e32 vcc, s49, v3
	s_nop 0
	v_cndmask_b32_e64 v16, 0, -1, s[0:1]
	v_cmp_le_u32_e64 s[0:1], s48, v15
	s_nop 1
	v_cndmask_b32_e64 v15, 0, -1, s[0:1]
	v_cmp_eq_u32_e64 s[0:1], s49, v14
	s_nop 1
	v_cndmask_b32_e64 v19, v16, v15, s[0:1]
	v_lshl_add_u64 v[14:15], v[10:11], 0, 2
	v_lshl_add_u64 v[16:17], v[10:11], 0, 1
	v_cmp_ne_u32_e64 s[0:1], 0, v19
	s_nop 1
	v_cndmask_b32_e64 v15, v17, v15, s[0:1]
	v_cndmask_b32_e64 v17, 0, -1, vcc
	v_cmp_le_u32_e32 vcc, s48, v13
	s_nop 1
	v_cndmask_b32_e64 v13, 0, -1, vcc
	v_cmp_eq_u32_e32 vcc, s49, v3
	s_nop 1
	v_cndmask_b32_e32 v3, v17, v13, vcc
	v_cmp_ne_u32_e32 vcc, 0, v3
	s_nop 1
	v_cndmask_b32_e32 v3, v11, v15, vcc
	v_cndmask_b32_e64 v11, v16, v14, s[0:1]
	v_cndmask_b32_e32 v10, v10, v11, vcc
	v_xor_b32_e32 v11, s46, v12
	v_xor_b32_e32 v10, v10, v11
	;; [unrolled: 1-line block ×3, first 2 shown]
	v_sub_co_u32_e32 v10, vcc, v10, v11
	s_nop 1
	v_subb_co_u32_e32 v11, vcc, v3, v11, vcc
.LBB21_10:                              ;   in Loop: Header=BB21_4 Depth=1
	s_andn2_saveexec_b64 s[0:1], s[2:3]
	s_cbranch_execz .LBB21_12
; %bb.11:                               ;   in Loop: Header=BB21_4 Depth=1
	v_cvt_f32_u32_e32 v3, s54
	s_sub_i32 s2, 0, s54
	v_rcp_iflag_f32_e32 v3, v3
	s_nop 0
	v_mul_f32_e32 v3, 0x4f7ffffe, v3
	v_cvt_u32_f32_e32 v3, v3
	v_mul_lo_u32 v10, s2, v3
	v_mul_hi_u32 v10, v3, v10
	v_add_u32_e32 v3, v3, v10
	v_mul_hi_u32 v3, v0, v3
	v_mul_lo_u32 v10, v3, s54
	v_sub_u32_e32 v10, v0, v10
	v_add_u32_e32 v11, 1, v3
	v_subrev_u32_e32 v12, s54, v10
	v_cmp_le_u32_e32 vcc, s54, v10
	s_nop 1
	v_cndmask_b32_e32 v10, v10, v12, vcc
	v_cndmask_b32_e32 v3, v3, v11, vcc
	v_add_u32_e32 v11, 1, v3
	v_cmp_le_u32_e32 vcc, s54, v10
	s_nop 1
	v_cndmask_b32_e32 v10, v3, v11, vcc
	v_mov_b32_e32 v11, v2
.LBB21_12:                              ;   in Loop: Header=BB21_4 Depth=1
	s_or_b64 exec, exec, s[0:1]
	v_or_b32_e32 v3, s17, v11
	v_cmp_ne_u64_e32 vcc, 0, v[2:3]
                                        ; implicit-def: $vgpr12_vgpr13
	s_and_saveexec_b64 s[0:1], vcc
	s_xor_b64 s[46:47], exec, s[0:1]
	s_cbranch_execz .LBB21_14
; %bb.13:                               ;   in Loop: Header=BB21_4 Depth=1
	s_ashr_i32 s0, s17, 31
	s_add_u32 s2, s16, s0
	s_mov_b32 s1, s0
	s_addc_u32 s3, s17, s0
	s_xor_b64 s[48:49], s[2:3], s[0:1]
	v_cvt_f32_u32_e32 v3, s48
	v_cvt_f32_u32_e32 v12, s49
	s_sub_u32 s2, 0, s48
	s_subb_u32 s3, 0, s49
	v_ashrrev_i32_e32 v14, 31, v11
	v_fmac_f32_e32 v3, 0x4f800000, v12
	v_rcp_f32_e32 v3, v3
	v_mov_b32_e32 v15, v14
	v_mov_b32_e32 v17, v2
	v_mul_f32_e32 v3, 0x5f7ffffc, v3
	v_mul_f32_e32 v12, 0x2f800000, v3
	v_trunc_f32_e32 v12, v12
	v_fmac_f32_e32 v3, 0xcf800000, v12
	v_cvt_u32_f32_e32 v12, v12
	v_cvt_u32_f32_e32 v3, v3
	v_readfirstlane_b32 s50, v12
	v_readfirstlane_b32 s0, v3
	s_mul_i32 s1, s2, s50
	s_mul_hi_u32 s52, s2, s0
	s_mul_i32 s51, s3, s0
	s_add_i32 s1, s52, s1
	s_add_i32 s1, s1, s51
	s_mul_i32 s53, s2, s0
	s_mul_i32 s52, s0, s1
	s_mul_hi_u32 s70, s0, s53
	s_mul_hi_u32 s51, s0, s1
	s_add_u32 s52, s70, s52
	s_addc_u32 s51, 0, s51
	s_mul_hi_u32 s71, s50, s53
	s_mul_i32 s53, s50, s53
	s_add_u32 s52, s52, s53
	s_mul_hi_u32 s70, s50, s1
	s_addc_u32 s51, s51, s71
	s_addc_u32 s52, s70, 0
	s_mul_i32 s1, s50, s1
	s_add_u32 s1, s51, s1
	s_addc_u32 s51, 0, s52
	s_add_u32 s52, s0, s1
	s_cselect_b64 s[0:1], -1, 0
	s_cmp_lg_u64 s[0:1], 0
	s_addc_u32 s50, s50, s51
	s_mul_i32 s0, s2, s50
	s_mul_hi_u32 s1, s2, s52
	s_add_i32 s0, s1, s0
	s_mul_i32 s3, s3, s52
	s_add_i32 s0, s0, s3
	s_mul_i32 s2, s2, s52
	s_mul_hi_u32 s3, s50, s2
	s_mul_i32 s51, s50, s2
	s_mul_i32 s70, s52, s0
	s_mul_hi_u32 s2, s52, s2
	s_mul_hi_u32 s53, s52, s0
	s_add_u32 s2, s2, s70
	s_addc_u32 s53, 0, s53
	s_add_u32 s2, s2, s51
	s_mul_hi_u32 s1, s50, s0
	s_addc_u32 s2, s53, s3
	s_addc_u32 s1, s1, 0
	s_mul_i32 s0, s50, s0
	s_add_u32 s0, s2, s0
	s_addc_u32 s2, 0, s1
	s_add_u32 s3, s52, s0
	s_cselect_b64 s[0:1], -1, 0
	s_cmp_lg_u64 s[0:1], 0
	v_lshl_add_u64 v[12:13], v[10:11], 0, v[14:15]
	s_addc_u32 s2, s50, s2
	v_xor_b32_e32 v15, v12, v14
	v_xor_b32_e32 v3, v13, v14
	v_mad_u64_u32 v[12:13], s[0:1], v15, s2, 0
	v_mul_hi_u32 v16, v15, s3
	v_lshl_add_u64 v[12:13], v[16:17], 0, v[12:13]
	v_mad_u64_u32 v[18:19], s[0:1], v3, s3, 0
	v_add_co_u32_e32 v12, vcc, v12, v18
	v_mad_u64_u32 v[16:17], s[0:1], v3, s2, 0
	s_nop 0
	v_addc_co_u32_e32 v12, vcc, v13, v19, vcc
	v_mov_b32_e32 v13, v2
	s_nop 0
	v_addc_co_u32_e32 v17, vcc, 0, v17, vcc
	v_lshl_add_u64 v[12:13], v[12:13], 0, v[16:17]
	v_mul_lo_u32 v16, s49, v12
	v_mul_lo_u32 v17, s48, v13
	v_mad_u64_u32 v[12:13], s[0:1], s48, v12, 0
	v_add3_u32 v13, v13, v17, v16
	v_sub_u32_e32 v16, v3, v13
	v_mov_b32_e32 v17, s49
	v_sub_co_u32_e32 v12, vcc, v15, v12
	s_nop 1
	v_subb_co_u32_e64 v15, s[0:1], v16, v17, vcc
	v_subrev_co_u32_e64 v16, s[0:1], s48, v12
	v_subb_co_u32_e32 v3, vcc, v3, v13, vcc
	s_nop 0
	v_subbrev_co_u32_e64 v18, s[2:3], 0, v15, s[0:1]
	v_cmp_le_u32_e64 s[2:3], s49, v18
	v_subb_co_u32_e64 v15, s[0:1], v15, v17, s[0:1]
	s_nop 0
	v_cndmask_b32_e64 v19, 0, -1, s[2:3]
	v_cmp_le_u32_e64 s[2:3], s48, v16
	v_subrev_co_u32_e64 v17, s[0:1], s48, v16
	s_nop 0
	v_cndmask_b32_e64 v20, 0, -1, s[2:3]
	v_cmp_eq_u32_e64 s[2:3], s49, v18
	v_subbrev_co_u32_e64 v15, s[0:1], 0, v15, s[0:1]
	s_nop 0
	v_cndmask_b32_e64 v19, v19, v20, s[2:3]
	v_cmp_le_u32_e32 vcc, s49, v3
	v_cmp_ne_u32_e64 s[0:1], 0, v19
	s_nop 0
	v_cndmask_b32_e64 v13, 0, -1, vcc
	v_cmp_le_u32_e32 vcc, s48, v12
	v_cndmask_b32_e64 v15, v18, v15, s[0:1]
	s_nop 0
	v_cndmask_b32_e64 v18, 0, -1, vcc
	v_cmp_eq_u32_e32 vcc, s49, v3
	s_nop 1
	v_cndmask_b32_e32 v13, v13, v18, vcc
	v_cmp_ne_u32_e32 vcc, 0, v13
	v_cndmask_b32_e64 v13, v16, v17, s[0:1]
	s_nop 0
	v_cndmask_b32_e32 v12, v12, v13, vcc
	v_cndmask_b32_e32 v3, v3, v15, vcc
	v_xor_b32_e32 v12, v12, v14
	v_xor_b32_e32 v3, v3, v14
	v_sub_co_u32_e32 v12, vcc, v12, v14
	s_nop 1
	v_subb_co_u32_e32 v13, vcc, v3, v14, vcc
.LBB21_14:                              ;   in Loop: Header=BB21_4 Depth=1
	s_andn2_saveexec_b64 s[0:1], s[46:47]
	s_cbranch_execz .LBB21_16
; %bb.15:                               ;   in Loop: Header=BB21_4 Depth=1
	v_cvt_f32_u32_e32 v3, s16
	s_sub_i32 s2, 0, s16
	v_mov_b32_e32 v13, v2
	v_rcp_iflag_f32_e32 v3, v3
	s_nop 0
	v_mul_f32_e32 v3, 0x4f7ffffe, v3
	v_cvt_u32_f32_e32 v3, v3
	v_mul_lo_u32 v12, s2, v3
	v_mul_hi_u32 v12, v3, v12
	v_add_u32_e32 v3, v3, v12
	v_mul_hi_u32 v3, v10, v3
	v_mul_lo_u32 v3, v3, s16
	v_sub_u32_e32 v3, v10, v3
	v_subrev_u32_e32 v12, s16, v3
	v_cmp_le_u32_e32 vcc, s16, v3
	s_nop 1
	v_cndmask_b32_e32 v3, v3, v12, vcc
	v_subrev_u32_e32 v12, s16, v3
	v_cmp_le_u32_e32 vcc, s16, v3
	s_nop 1
	v_cndmask_b32_e32 v12, v3, v12, vcc
.LBB21_16:                              ;   in Loop: Header=BB21_4 Depth=1
	s_or_b64 exec, exec, s[0:1]
	v_mad_u64_u32 v[16:17], s[0:1], s67, v10, v[0:1]
	v_mul_lo_u32 v3, s67, v11
	v_mul_lo_u32 v14, s68, v10
	v_add3_u32 v17, v14, v17, v3
	v_or_b32_e32 v3, s9, v17
	v_cmp_ne_u64_e32 vcc, 0, v[2:3]
                                        ; implicit-def: $vgpr14_vgpr15
	s_and_saveexec_b64 s[0:1], vcc
	s_xor_b64 s[2:3], exec, s[0:1]
	s_cbranch_execz .LBB21_18
; %bb.17:                               ;   in Loop: Header=BB21_4 Depth=1
	s_ashr_i32 s46, s9, 31
	s_add_u32 s0, s8, s46
	s_mov_b32 s47, s46
	s_addc_u32 s1, s9, s46
	s_xor_b64 s[48:49], s[0:1], s[46:47]
	v_cvt_f32_u32_e32 v3, s48
	v_cvt_f32_u32_e32 v14, s49
	s_sub_u32 s47, 0, s48
	s_subb_u32 s50, 0, s49
	v_mov_b32_e32 v19, v2
	v_fmac_f32_e32 v3, 0x4f800000, v14
	v_rcp_f32_e32 v3, v3
	s_nop 0
	v_mul_f32_e32 v3, 0x5f7ffffc, v3
	v_mul_f32_e32 v14, 0x2f800000, v3
	v_trunc_f32_e32 v14, v14
	v_fmac_f32_e32 v3, 0xcf800000, v14
	v_cvt_u32_f32_e32 v14, v14
	v_cvt_u32_f32_e32 v3, v3
	v_readfirstlane_b32 s51, v14
	v_readfirstlane_b32 s0, v3
	s_mul_i32 s1, s47, s51
	s_mul_hi_u32 s53, s47, s0
	s_mul_i32 s52, s50, s0
	s_add_i32 s1, s53, s1
	s_add_i32 s1, s1, s52
	s_mul_i32 s70, s47, s0
	s_mul_i32 s53, s0, s1
	s_mul_hi_u32 s71, s0, s70
	s_mul_hi_u32 s52, s0, s1
	s_add_u32 s53, s71, s53
	s_addc_u32 s52, 0, s52
	s_mul_hi_u32 s72, s51, s70
	s_mul_i32 s70, s51, s70
	s_add_u32 s53, s53, s70
	s_mul_hi_u32 s71, s51, s1
	s_addc_u32 s52, s52, s72
	s_addc_u32 s53, s71, 0
	s_mul_i32 s1, s51, s1
	s_add_u32 s1, s52, s1
	s_addc_u32 s52, 0, s53
	s_add_u32 s53, s0, s1
	s_cselect_b64 s[0:1], -1, 0
	s_cmp_lg_u64 s[0:1], 0
	s_addc_u32 s51, s51, s52
	s_mul_i32 s0, s47, s51
	s_mul_hi_u32 s1, s47, s53
	s_add_i32 s0, s1, s0
	s_mul_i32 s50, s50, s53
	s_add_i32 s0, s0, s50
	s_mul_i32 s47, s47, s53
	s_mul_hi_u32 s50, s51, s47
	s_mul_i32 s52, s51, s47
	s_mul_i32 s71, s53, s0
	s_mul_hi_u32 s47, s53, s47
	s_mul_hi_u32 s70, s53, s0
	s_add_u32 s47, s47, s71
	s_addc_u32 s70, 0, s70
	s_add_u32 s47, s47, s52
	s_mul_hi_u32 s1, s51, s0
	s_addc_u32 s47, s70, s50
	s_addc_u32 s1, s1, 0
	s_mul_i32 s0, s51, s0
	s_add_u32 s0, s47, s0
	s_addc_u32 s47, 0, s1
	s_add_u32 s50, s53, s0
	v_ashrrev_i32_e32 v14, 31, v17
	s_cselect_b64 s[0:1], -1, 0
	v_mov_b32_e32 v15, v14
	s_cmp_lg_u64 s[0:1], 0
	v_lshl_add_u64 v[16:17], v[16:17], 0, v[14:15]
	s_addc_u32 s47, s51, s47
	v_xor_b32_e32 v15, v16, v14
	v_xor_b32_e32 v3, v17, v14
	v_mad_u64_u32 v[16:17], s[0:1], v15, s47, 0
	v_mul_hi_u32 v18, v15, s50
	v_lshl_add_u64 v[16:17], v[18:19], 0, v[16:17]
	v_mad_u64_u32 v[20:21], s[0:1], v3, s50, 0
	v_add_co_u32_e32 v16, vcc, v16, v20
	v_mad_u64_u32 v[18:19], s[0:1], v3, s47, 0
	s_nop 0
	v_addc_co_u32_e32 v16, vcc, v17, v21, vcc
	v_mov_b32_e32 v17, v2
	s_nop 0
	v_addc_co_u32_e32 v19, vcc, 0, v19, vcc
	v_lshl_add_u64 v[16:17], v[16:17], 0, v[18:19]
	v_mul_lo_u32 v20, s49, v16
	v_mul_lo_u32 v21, s48, v17
	v_mad_u64_u32 v[18:19], s[0:1], s48, v16, 0
	v_add3_u32 v22, v19, v21, v20
	v_sub_u32_e32 v19, v3, v22
	v_mov_b32_e32 v20, s49
	v_sub_co_u32_e32 v15, vcc, v15, v18
	s_nop 1
	v_subb_co_u32_e64 v18, s[0:1], v19, v20, vcc
	v_subrev_co_u32_e64 v19, s[0:1], s48, v15
	v_subb_co_u32_e32 v3, vcc, v3, v22, vcc
	s_nop 0
	v_subbrev_co_u32_e64 v18, s[0:1], 0, v18, s[0:1]
	v_cmp_le_u32_e64 s[0:1], s49, v18
	v_cmp_le_u32_e32 vcc, s49, v3
	s_nop 0
	v_cndmask_b32_e64 v20, 0, -1, s[0:1]
	v_cmp_le_u32_e64 s[0:1], s48, v19
	s_nop 1
	v_cndmask_b32_e64 v19, 0, -1, s[0:1]
	v_cmp_eq_u32_e64 s[0:1], s49, v18
	s_nop 1
	v_cndmask_b32_e64 v23, v20, v19, s[0:1]
	v_lshl_add_u64 v[18:19], v[16:17], 0, 2
	v_lshl_add_u64 v[20:21], v[16:17], 0, 1
	v_cmp_ne_u32_e64 s[0:1], 0, v23
	s_nop 1
	v_cndmask_b32_e64 v19, v21, v19, s[0:1]
	v_cndmask_b32_e64 v21, 0, -1, vcc
	v_cmp_le_u32_e32 vcc, s48, v15
	s_nop 1
	v_cndmask_b32_e64 v15, 0, -1, vcc
	v_cmp_eq_u32_e32 vcc, s49, v3
	s_nop 1
	v_cndmask_b32_e32 v3, v21, v15, vcc
	v_cmp_ne_u32_e32 vcc, 0, v3
	v_cndmask_b32_e64 v15, v20, v18, s[0:1]
	s_nop 0
	v_cndmask_b32_e32 v15, v16, v15, vcc
	v_xor_b32_e32 v16, s46, v14
	v_cndmask_b32_e32 v3, v17, v19, vcc
	v_xor_b32_e32 v14, v15, v16
	v_xor_b32_e32 v3, v3, v16
	v_sub_co_u32_e32 v14, vcc, v14, v16
	s_nop 1
	v_subb_co_u32_e32 v15, vcc, v3, v16, vcc
                                        ; implicit-def: $vgpr16_vgpr17
.LBB21_18:                              ;   in Loop: Header=BB21_4 Depth=1
	s_andn2_saveexec_b64 s[0:1], s[2:3]
	s_cbranch_execz .LBB21_20
; %bb.19:                               ;   in Loop: Header=BB21_4 Depth=1
	v_cvt_f32_u32_e32 v3, s8
	s_sub_i32 s2, 0, s8
	v_rcp_iflag_f32_e32 v3, v3
	s_nop 0
	v_mul_f32_e32 v3, 0x4f7ffffe, v3
	v_cvt_u32_f32_e32 v3, v3
	v_mul_lo_u32 v14, s2, v3
	v_mul_hi_u32 v14, v3, v14
	v_add_u32_e32 v3, v3, v14
	v_mul_hi_u32 v3, v16, v3
	v_mul_lo_u32 v14, v3, s8
	v_sub_u32_e32 v14, v16, v14
	v_add_u32_e32 v15, 1, v3
	v_subrev_u32_e32 v16, s8, v14
	v_cmp_le_u32_e32 vcc, s8, v14
	s_nop 1
	v_cndmask_b32_e32 v14, v14, v16, vcc
	v_cndmask_b32_e32 v3, v3, v15, vcc
	v_add_u32_e32 v15, 1, v3
	v_cmp_le_u32_e32 vcc, s8, v14
	s_nop 1
	v_cndmask_b32_e32 v14, v3, v15, vcc
	v_mov_b32_e32 v15, v2
.LBB21_20:                              ;   in Loop: Header=BB21_4 Depth=1
	s_or_b64 exec, exec, s[0:1]
	v_mul_lo_u32 v3, v11, s54
	v_mul_lo_u32 v18, v10, s33
	v_mad_u64_u32 v[16:17], s[0:1], v10, s54, 0
	v_add3_u32 v3, v17, v18, v3
	v_sub_co_u32_e32 v18, vcc, v0, v16
	v_mul_lo_u32 v19, v15, s8
	s_nop 0
	v_subb_co_u32_e32 v3, vcc, v1, v3, vcc
	v_mul_lo_u32 v20, v14, s9
	v_mad_u64_u32 v[16:17], s[0:1], v14, s8, 0
	v_add3_u32 v17, v17, v20, v19
	v_sub_co_u32_e32 v29, vcc, v18, v16
	v_mul_lo_u32 v18, s65, v11
	s_nop 0
	v_subb_co_u32_e32 v30, vcc, v3, v17, vcc
	;; [unrolled: 7-line block ×3, first 2 shown]
	v_mul_lo_u32 v21, s8, v27
	v_mad_u64_u32 v[16:17], s[0:1], s8, v3, 0
	v_mad_u64_u32 v[18:19], s[0:1], s8, v3, v[0:1]
	v_add3_u32 v17, v17, v21, v20
	v_add3_u32 v19, v20, v19, v21
	v_cmp_lt_i64_e32 vcc, 0, v[14:15]
	v_cmp_ge_i64_e64 s[0:1], s[22:23], v[14:15]
	s_and_b64 s[50:51], vcc, s[0:1]
	v_cmp_eq_u64_e32 vcc, v[16:17], v[4:5]
	v_cmp_lt_i64_e64 s[0:1], s[20:21], v[18:19]
	s_or_b64 s[46:47], vcc, s[0:1]
	v_cmp_gt_i64_e32 vcc, s[28:29], v[18:19]
	v_cmp_le_i64_e64 s[0:1], s[36:37], v[18:19]
	s_and_b64 s[2:3], vcc, s[0:1]
	v_mov_b32_e32 v28, 0
	v_lshl_add_u64 v[18:19], s[20:21], 0, v[0:1]
	s_and_saveexec_b64 s[48:49], s[50:51]
	s_cbranch_execz .LBB21_28
; %bb.21:                               ;   in Loop: Header=BB21_4 Depth=1
	v_mov_b32_e32 v20, s23
	v_sub_co_u32_e32 v22, vcc, s22, v14
	v_mul_lo_u32 v32, v22, s56
	s_nop 0
	v_subb_co_u32_e32 v20, vcc, v20, v15, vcc
	v_mul_lo_u32 v31, v20, s55
	v_mad_u64_u32 v[20:21], s[0:1], v22, s55, v[16:17]
	v_add3_u32 v21, v31, v21, v32
	v_lshl_add_u64 v[20:21], v[18:19], 0, v[20:21]
	v_cmp_gt_i64_e32 vcc, s[24:25], v[20:21]
	v_mov_b32_e32 v28, 0
	s_and_saveexec_b64 s[0:1], vcc
	s_cbranch_execz .LBB21_23
; %bb.22:                               ;   in Loop: Header=BB21_4 Depth=1
	v_mul_lo_u32 v23, s59, v8
	v_mul_lo_u32 v28, s60, v9
	v_mad_u64_u32 v[34:35], s[50:51], s60, v8, 0
	v_add3_u32 v35, v35, v28, v23
	v_mul_lo_u32 v23, v13, s24
	v_mul_lo_u32 v28, v12, s25
	v_mad_u64_u32 v[36:37], s[50:51], v12, s24, 0
	v_add3_u32 v37, v37, v28, v23
	v_lshl_add_u64 v[34:35], v[34:35], 1, s[6:7]
	v_lshl_add_u64 v[34:35], v[36:37], 1, v[34:35]
	;; [unrolled: 1-line block ×3, first 2 shown]
	global_load_ushort v20, v[20:21], off
	s_waitcnt vmcnt(0)
	v_lshlrev_b32_e32 v20, 16, v20
	v_add_f32_e32 v21, 0, v20
	v_cmp_o_f32_e32 vcc, v20, v20
	v_bfe_u32 v20, v21, 16, 1
	v_add3_u32 v20, v21, v20, s69
	v_cndmask_b32_sdwa v28, v25, v20, vcc dst_sel:DWORD dst_unused:UNUSED_PAD src0_sel:DWORD src1_sel:WORD_1
.LBB21_23:                              ;   in Loop: Header=BB21_4 Depth=1
	s_or_b64 exec, exec, s[0:1]
	v_mad_u64_u32 v[22:23], s[0:1], v22, s55, 0
	v_add3_u32 v23, v23, v32, v31
	s_mov_b64 s[52:53], 0
                                        ; implicit-def: $vgpr20_vgpr21
	s_and_saveexec_b64 s[0:1], s[46:47]
	s_xor_b64 s[50:51], exec, s[0:1]
	s_cbranch_execnz .LBB21_45
; %bb.24:                               ;   in Loop: Header=BB21_4 Depth=1
	s_andn2_saveexec_b64 s[50:51], s[50:51]
	s_cbranch_execnz .LBB21_48
.LBB21_25:                              ;   in Loop: Header=BB21_4 Depth=1
	s_or_b64 exec, exec, s[50:51]
	s_and_saveexec_b64 s[0:1], s[52:53]
	s_cbranch_execz .LBB21_27
.LBB21_26:                              ;   in Loop: Header=BB21_4 Depth=1
	v_mul_lo_u32 v31, s59, v8
	v_mul_lo_u32 v32, s60, v9
	v_mad_u64_u32 v[22:23], s[50:51], s60, v8, 0
	v_add3_u32 v23, v23, v32, v31
	v_mul_lo_u32 v31, v13, s24
	v_mul_lo_u32 v34, v12, s25
	v_mad_u64_u32 v[32:33], s[50:51], v12, s24, 0
	v_add3_u32 v33, v33, v34, v31
	v_lshl_add_u64 v[22:23], v[22:23], 1, s[6:7]
	v_lshl_add_u64 v[22:23], v[32:33], 1, v[22:23]
	;; [unrolled: 1-line block ×3, first 2 shown]
	global_load_ushort v20, v[20:21], off
	v_lshlrev_b32_e32 v21, 16, v28
	s_waitcnt vmcnt(0)
	v_lshlrev_b32_e32 v20, 16, v20
	v_add_f32_e32 v20, v20, v21
	v_bfe_u32 v21, v20, 16, 1
	v_cmp_o_f32_e32 vcc, v20, v20
	v_add3_u32 v20, v20, v21, s69
	s_nop 0
	v_cndmask_b32_sdwa v28, v25, v20, vcc dst_sel:DWORD dst_unused:UNUSED_PAD src0_sel:DWORD src1_sel:WORD_1
.LBB21_27:                              ;   in Loop: Header=BB21_4 Depth=1
	s_or_b64 exec, exec, s[0:1]
.LBB21_28:                              ;   in Loop: Header=BB21_4 Depth=1
	s_or_b64 exec, exec, s[48:49]
	v_cmp_gt_i64_e32 vcc, s[30:31], v[14:15]
	v_cmp_le_i64_e64 s[0:1], s[34:35], v[14:15]
	s_and_b64 s[0:1], vcc, s[0:1]
	s_and_saveexec_b64 s[48:49], s[0:1]
	s_cbranch_execz .LBB21_36
; %bb.29:                               ;   in Loop: Header=BB21_4 Depth=1
	v_mov_b32_e32 v21, s64
	v_sub_co_u32_e32 v20, vcc, s63, v14
	v_mul_lo_u32 v22, s56, v20
	s_nop 0
	v_subb_co_u32_e32 v21, vcc, v21, v15, vcc
	v_mul_lo_u32 v23, s55, v21
	v_mad_u64_u32 v[32:33], s[0:1], s55, v20, v[16:17]
	v_add3_u32 v33, v22, v33, v23
	v_lshl_add_u64 v[18:19], v[18:19], 0, v[32:33]
	v_cmp_lt_i64_e32 vcc, -1, v[18:19]
	v_cmp_gt_i64_e64 s[0:1], s[24:25], v[18:19]
	s_and_b64 s[50:51], vcc, s[0:1]
	s_and_saveexec_b64 s[0:1], s[50:51]
	s_cbranch_execz .LBB21_31
; %bb.30:                               ;   in Loop: Header=BB21_4 Depth=1
	v_mul_lo_u32 v21, s59, v8
	v_mul_lo_u32 v31, s60, v9
	v_mad_u64_u32 v[32:33], s[50:51], s60, v8, 0
	v_add3_u32 v33, v33, v31, v21
	v_mul_lo_u32 v21, v13, s24
	v_mul_lo_u32 v31, v12, s25
	v_mad_u64_u32 v[34:35], s[50:51], v12, s24, 0
	v_add3_u32 v35, v35, v31, v21
	v_lshl_add_u64 v[32:33], v[32:33], 1, s[6:7]
	v_lshl_add_u64 v[32:33], v[34:35], 1, v[32:33]
	;; [unrolled: 1-line block ×3, first 2 shown]
	global_load_ushort v18, v[18:19], off
	v_lshlrev_b32_e32 v19, 16, v28
	s_waitcnt vmcnt(0)
	v_lshlrev_b32_e32 v18, 16, v18
	v_add_f32_e32 v18, v18, v19
	v_bfe_u32 v19, v18, 16, 1
	v_cmp_o_f32_e32 vcc, v18, v18
	v_add3_u32 v18, v18, v19, s69
	s_nop 0
	v_cndmask_b32_sdwa v28, v25, v18, vcc dst_sel:DWORD dst_unused:UNUSED_PAD src0_sel:DWORD src1_sel:WORD_1
.LBB21_31:                              ;   in Loop: Header=BB21_4 Depth=1
	s_or_b64 exec, exec, s[0:1]
	v_mad_u64_u32 v[20:21], s[0:1], s55, v20, 0
	v_add3_u32 v21, v21, v23, v22
	s_mov_b64 s[52:53], 0
                                        ; implicit-def: $vgpr18_vgpr19
	s_and_saveexec_b64 s[0:1], s[46:47]
	s_xor_b64 s[50:51], exec, s[0:1]
	s_cbranch_execnz .LBB21_49
; %bb.32:                               ;   in Loop: Header=BB21_4 Depth=1
	s_andn2_saveexec_b64 s[50:51], s[50:51]
	s_cbranch_execnz .LBB21_52
.LBB21_33:                              ;   in Loop: Header=BB21_4 Depth=1
	s_or_b64 exec, exec, s[50:51]
	s_and_saveexec_b64 s[0:1], s[52:53]
	s_cbranch_execz .LBB21_35
.LBB21_34:                              ;   in Loop: Header=BB21_4 Depth=1
	v_mul_lo_u32 v22, s59, v8
	v_mul_lo_u32 v23, s60, v9
	v_mad_u64_u32 v[20:21], s[50:51], s60, v8, 0
	v_add3_u32 v21, v21, v23, v22
	v_mul_lo_u32 v29, v13, s24
	v_mul_lo_u32 v30, v12, s25
	v_mad_u64_u32 v[22:23], s[50:51], v12, s24, 0
	v_add3_u32 v23, v23, v30, v29
	v_lshl_add_u64 v[20:21], v[20:21], 1, s[6:7]
	v_lshl_add_u64 v[20:21], v[22:23], 1, v[20:21]
	;; [unrolled: 1-line block ×3, first 2 shown]
	global_load_ushort v18, v[18:19], off
	v_lshlrev_b32_e32 v19, 16, v28
	s_waitcnt vmcnt(0)
	v_lshlrev_b32_e32 v18, 16, v18
	v_add_f32_e32 v18, v18, v19
	v_bfe_u32 v19, v18, 16, 1
	v_cmp_o_f32_e32 vcc, v18, v18
	v_add3_u32 v18, v18, v19, s69
	s_nop 0
	v_cndmask_b32_sdwa v28, v25, v18, vcc dst_sel:DWORD dst_unused:UNUSED_PAD src0_sel:DWORD src1_sel:WORD_1
.LBB21_35:                              ;   in Loop: Header=BB21_4 Depth=1
	s_or_b64 exec, exec, s[0:1]
.LBB21_36:                              ;   in Loop: Header=BB21_4 Depth=1
	s_or_b64 exec, exec, s[48:49]
	v_lshl_add_u64 v[22:23], v[14:15], 0, s[22:23]
	v_mul_lo_u32 v29, v23, s55
	v_mul_lo_u32 v23, v22, s56
                                        ; implicit-def: $vgpr18_vgpr19
	s_and_saveexec_b64 s[0:1], s[46:47]
	s_xor_b64 s[0:1], exec, s[0:1]
	s_cbranch_execnz .LBB21_39
; %bb.37:                               ;   in Loop: Header=BB21_4 Depth=1
	s_or_saveexec_b64 s[46:47], s[0:1]
	v_lshl_add_u64 v[20:21], s[20:21], 0, v[4:5]
	s_xor_b64 exec, exec, s[46:47]
	s_cbranch_execnz .LBB21_40
.LBB21_38:                              ;   in Loop: Header=BB21_4 Depth=1
	s_or_b64 exec, exec, s[46:47]
	s_and_saveexec_b64 s[46:47], s[2:3]
	s_cbranch_execz .LBB21_3
	s_branch .LBB21_43
.LBB21_39:                              ;   in Loop: Header=BB21_4 Depth=1
	v_mad_u64_u32 v[18:19], s[46:47], v22, s55, 0
	v_add3_u32 v19, v19, v23, v29
                                        ; implicit-def: $vgpr22_vgpr23
                                        ; implicit-def: $vgpr23
                                        ; implicit-def: $vgpr29
                                        ; implicit-def: $vgpr16_vgpr17
	s_or_saveexec_b64 s[46:47], s[0:1]
	v_lshl_add_u64 v[20:21], s[20:21], 0, v[4:5]
	s_xor_b64 exec, exec, s[46:47]
	s_cbranch_execz .LBB21_38
.LBB21_40:                              ;   in Loop: Header=BB21_4 Depth=1
	v_mad_u64_u32 v[18:19], s[0:1], v22, s55, 0
	v_add3_u32 v19, v19, v23, v29
	v_sub_co_u32_e32 v16, vcc, v18, v16
	s_nop 1
	v_subb_co_u32_e32 v17, vcc, v19, v17, vcc
	v_lshl_add_u64 v[16:17], v[20:21], 0, v[16:17]
	v_cmp_lt_i64_e32 vcc, -1, v[16:17]
	v_cmp_gt_i64_e64 s[0:1], s[24:25], v[16:17]
	s_and_b64 s[48:49], vcc, s[0:1]
	s_and_saveexec_b64 s[0:1], s[48:49]
	s_cbranch_execz .LBB21_42
; %bb.41:                               ;   in Loop: Header=BB21_4 Depth=1
	v_mul_lo_u32 v29, s59, v8
	v_mul_lo_u32 v30, s60, v9
	v_mad_u64_u32 v[22:23], s[48:49], s60, v8, 0
	v_add3_u32 v23, v23, v30, v29
	v_mul_lo_u32 v29, v13, s24
	v_mul_lo_u32 v32, v12, s25
	v_mad_u64_u32 v[30:31], s[48:49], v12, s24, 0
	v_add3_u32 v31, v31, v32, v29
	v_lshl_add_u64 v[22:23], v[22:23], 1, s[6:7]
	v_lshl_add_u64 v[22:23], v[30:31], 1, v[22:23]
	;; [unrolled: 1-line block ×3, first 2 shown]
	global_load_ushort v16, v[16:17], off
	v_lshlrev_b32_e32 v17, 16, v28
	s_waitcnt vmcnt(0)
	v_lshlrev_b32_e32 v16, 16, v16
	v_add_f32_e32 v16, v16, v17
	v_bfe_u32 v17, v16, 16, 1
	v_cmp_o_f32_e32 vcc, v16, v16
	v_add3_u32 v16, v16, v17, s69
	s_nop 0
	v_cndmask_b32_sdwa v28, v25, v16, vcc dst_sel:DWORD dst_unused:UNUSED_PAD src0_sel:DWORD src1_sel:WORD_1
.LBB21_42:                              ;   in Loop: Header=BB21_4 Depth=1
	s_or_b64 exec, exec, s[0:1]
	s_or_b64 exec, exec, s[46:47]
	s_and_saveexec_b64 s[46:47], s[2:3]
	s_cbranch_execz .LBB21_3
.LBB21_43:                              ;   in Loop: Header=BB21_4 Depth=1
	v_mad_u64_u32 v[14:15], s[0:1], s10, v10, v[14:15]
	v_mul_lo_u32 v11, s10, v11
	v_mul_lo_u32 v10, s11, v10
	v_add3_u32 v15, v10, v15, v11
	v_lshl_add_u64 v[10:11], v[14:15], 0, 2
	v_mul_lo_u32 v14, s8, v11
	v_mul_lo_u32 v15, s9, v10
	v_mad_u64_u32 v[10:11], s[0:1], s8, v10, v[18:19]
	v_add3_u32 v11, v15, v11, v14
	v_lshl_add_u64 v[10:11], v[20:21], 0, v[10:11]
	v_lshl_add_u64 v[10:11], v[10:11], 0, -2
	v_cmp_lt_i64_e32 vcc, -1, v[10:11]
	v_cmp_gt_i64_e64 s[0:1], s[24:25], v[10:11]
	s_and_b64 s[2:3], vcc, s[0:1]
	s_and_saveexec_b64 s[0:1], s[2:3]
	s_cbranch_execz .LBB21_2
; %bb.44:                               ;   in Loop: Header=BB21_4 Depth=1
	v_mul_lo_u32 v16, s59, v8
	v_mul_lo_u32 v17, s60, v9
	v_mad_u64_u32 v[14:15], s[2:3], s60, v8, 0
	v_add3_u32 v15, v15, v17, v16
	v_mul_lo_u32 v20, v13, s24
	v_mul_lo_u32 v21, v12, s25
	v_mad_u64_u32 v[16:17], s[2:3], v12, s24, 0
	v_add3_u32 v17, v17, v21, v20
	v_lshl_add_u64 v[14:15], v[14:15], 1, s[6:7]
	v_lshl_add_u64 v[14:15], v[16:17], 1, v[14:15]
	;; [unrolled: 1-line block ×3, first 2 shown]
	global_load_ushort v10, v[10:11], off
	v_lshlrev_b32_e32 v11, 16, v28
	s_waitcnt vmcnt(0)
	v_lshlrev_b32_e32 v10, 16, v10
	v_add_f32_e32 v10, v10, v11
	v_bfe_u32 v11, v10, 16, 1
	v_cmp_o_f32_e32 vcc, v10, v10
	v_add3_u32 v10, v10, v11, s69
	s_nop 0
	v_cndmask_b32_sdwa v28, v25, v10, vcc dst_sel:DWORD dst_unused:UNUSED_PAD src0_sel:DWORD src1_sel:WORD_1
	s_branch .LBB21_2
.LBB21_45:                              ;   in Loop: Header=BB21_4 Depth=1
	s_mov_b64 s[0:1], 0
                                        ; implicit-def: $vgpr20_vgpr21
	s_and_saveexec_b64 s[52:53], s[2:3]
	s_xor_b64 s[52:53], exec, s[52:53]
	s_cbranch_execz .LBB21_47
; %bb.46:                               ;   in Loop: Header=BB21_4 Depth=1
	v_mad_u64_u32 v[32:33], s[0:1], s10, v10, v[14:15]
	v_mul_lo_u32 v31, s10, v11
	v_mul_lo_u32 v34, s11, v10
	v_mov_b32_e32 v21, s62
	v_sub_co_u32_e32 v20, vcc, s61, v29
	v_add3_u32 v33, v34, v33, v31
	s_nop 0
	v_subb_co_u32_e32 v21, vcc, v21, v30, vcc
	v_lshl_add_u64 v[32:33], v[32:33], 0, 2
	v_lshl_add_u64 v[20:21], v[20:21], 0, v[22:23]
	v_mul_lo_u32 v31, s8, v33
	v_mul_lo_u32 v33, s9, v32
	v_mad_u64_u32 v[22:23], s[0:1], s8, v32, v[22:23]
	v_add3_u32 v23, v33, v23, v31
	v_lshl_add_u64 v[32:33], s[20:21], 0, v[4:5]
	v_lshl_add_u64 v[22:23], v[32:33], 0, v[22:23]
	v_lshl_add_u64 v[22:23], v[22:23], 0, -2
	v_cmp_lt_i64_e32 vcc, -1, v[22:23]
	v_cmp_gt_i64_e64 s[0:1], s[24:25], v[22:23]
	s_and_b64 s[0:1], vcc, s[0:1]
	s_and_b64 s[0:1], s[0:1], exec
.LBB21_47:                              ;   in Loop: Header=BB21_4 Depth=1
	s_or_b64 exec, exec, s[52:53]
	s_and_b64 s[52:53], s[0:1], exec
                                        ; implicit-def: $vgpr22_vgpr23
	s_andn2_saveexec_b64 s[50:51], s[50:51]
	s_cbranch_execz .LBB21_25
.LBB21_48:                              ;   in Loop: Header=BB21_4 Depth=1
	v_sub_co_u32_e32 v20, vcc, v22, v16
	s_andn2_b64 s[52:53], s[52:53], exec
	s_nop 0
	v_subb_co_u32_e32 v21, vcc, v23, v17, vcc
	v_lshl_add_u64 v[22:23], s[20:21], 0, v[4:5]
	v_lshl_add_u64 v[20:21], v[22:23], 0, v[20:21]
	v_cmp_lt_i64_e32 vcc, -1, v[20:21]
	v_cmp_gt_i64_e64 s[0:1], s[24:25], v[20:21]
	s_and_b64 s[0:1], vcc, s[0:1]
	s_and_b64 s[0:1], s[0:1], exec
	s_or_b64 s[52:53], s[52:53], s[0:1]
	s_or_b64 exec, exec, s[50:51]
	s_and_saveexec_b64 s[0:1], s[52:53]
	s_cbranch_execnz .LBB21_26
	s_branch .LBB21_27
.LBB21_49:                              ;   in Loop: Header=BB21_4 Depth=1
	s_mov_b64 s[0:1], 0
                                        ; implicit-def: $vgpr18_vgpr19
	s_and_saveexec_b64 s[52:53], s[2:3]
	s_xor_b64 s[52:53], exec, s[52:53]
	s_cbranch_execz .LBB21_51
; %bb.50:                               ;   in Loop: Header=BB21_4 Depth=1
	v_lshl_add_u64 v[18:19], s[12:13], 0, v[20:21]
	v_sub_co_u32_e32 v18, vcc, v18, v29
	v_mad_u64_u32 v[22:23], s[0:1], s10, v10, v[14:15]
	s_nop 0
	v_subb_co_u32_e32 v19, vcc, v19, v30, vcc
	v_mul_lo_u32 v29, s10, v11
	v_mul_lo_u32 v30, s11, v10
	v_add3_u32 v23, v30, v23, v29
	v_lshl_add_u64 v[22:23], v[22:23], 0, 2
	v_mul_lo_u32 v23, s8, v23
	v_mul_lo_u32 v29, s9, v22
	v_mad_u64_u32 v[20:21], s[0:1], s8, v22, v[20:21]
	v_add3_u32 v21, v29, v21, v23
	v_lshl_add_u64 v[22:23], s[20:21], 0, v[4:5]
	v_lshl_add_u64 v[20:21], v[22:23], 0, v[20:21]
	v_lshl_add_u64 v[20:21], v[20:21], 0, -2
	v_cmp_lt_i64_e32 vcc, -1, v[20:21]
	v_cmp_gt_i64_e64 s[0:1], s[24:25], v[20:21]
	s_and_b64 s[0:1], vcc, s[0:1]
	s_and_b64 s[0:1], s[0:1], exec
.LBB21_51:                              ;   in Loop: Header=BB21_4 Depth=1
	s_or_b64 exec, exec, s[52:53]
	s_and_b64 s[52:53], s[0:1], exec
                                        ; implicit-def: $vgpr20_vgpr21
	s_andn2_saveexec_b64 s[50:51], s[50:51]
	s_cbranch_execz .LBB21_33
.LBB21_52:                              ;   in Loop: Header=BB21_4 Depth=1
	v_sub_co_u32_e32 v18, vcc, v20, v16
	s_andn2_b64 s[52:53], s[52:53], exec
	s_nop 0
	v_subb_co_u32_e32 v19, vcc, v21, v17, vcc
	v_lshl_add_u64 v[20:21], s[20:21], 0, v[4:5]
	v_lshl_add_u64 v[18:19], v[20:21], 0, v[18:19]
	v_cmp_lt_i64_e32 vcc, -1, v[18:19]
	v_cmp_gt_i64_e64 s[0:1], s[24:25], v[18:19]
	s_and_b64 s[0:1], vcc, s[0:1]
	s_and_b64 s[0:1], s[0:1], exec
	s_or_b64 s[52:53], s[52:53], s[0:1]
	s_or_b64 exec, exec, s[50:51]
	s_and_saveexec_b64 s[0:1], s[52:53]
	s_cbranch_execnz .LBB21_34
	s_branch .LBB21_35
.LBB21_53:
	s_endpgm
	.section	.rodata,"a",@progbits
	.p2align	6, 0x0
	.amdhsa_kernel _ZN2at6native12_GLOBAL__N_140reflection_pad2d_backward_det_out_kernelIN3c108BFloat16EEEvPT_PKS5_lliiiiiii
		.amdhsa_group_segment_fixed_size 0
		.amdhsa_private_segment_fixed_size 0
		.amdhsa_kernarg_size 320
		.amdhsa_user_sgpr_count 2
		.amdhsa_user_sgpr_dispatch_ptr 0
		.amdhsa_user_sgpr_queue_ptr 0
		.amdhsa_user_sgpr_kernarg_segment_ptr 1
		.amdhsa_user_sgpr_dispatch_id 0
		.amdhsa_user_sgpr_kernarg_preload_length 0
		.amdhsa_user_sgpr_kernarg_preload_offset 0
		.amdhsa_user_sgpr_private_segment_size 0
		.amdhsa_uses_dynamic_stack 0
		.amdhsa_enable_private_segment 0
		.amdhsa_system_sgpr_workgroup_id_x 1
		.amdhsa_system_sgpr_workgroup_id_y 0
		.amdhsa_system_sgpr_workgroup_id_z 0
		.amdhsa_system_sgpr_workgroup_info 0
		.amdhsa_system_vgpr_workitem_id 0
		.amdhsa_next_free_vgpr 38
		.amdhsa_next_free_sgpr 73
		.amdhsa_accum_offset 40
		.amdhsa_reserve_vcc 1
		.amdhsa_float_round_mode_32 0
		.amdhsa_float_round_mode_16_64 0
		.amdhsa_float_denorm_mode_32 3
		.amdhsa_float_denorm_mode_16_64 3
		.amdhsa_dx10_clamp 1
		.amdhsa_ieee_mode 1
		.amdhsa_fp16_overflow 0
		.amdhsa_tg_split 0
		.amdhsa_exception_fp_ieee_invalid_op 0
		.amdhsa_exception_fp_denorm_src 0
		.amdhsa_exception_fp_ieee_div_zero 0
		.amdhsa_exception_fp_ieee_overflow 0
		.amdhsa_exception_fp_ieee_underflow 0
		.amdhsa_exception_fp_ieee_inexact 0
		.amdhsa_exception_int_div_zero 0
	.end_amdhsa_kernel
	.section	.text._ZN2at6native12_GLOBAL__N_140reflection_pad2d_backward_det_out_kernelIN3c108BFloat16EEEvPT_PKS5_lliiiiiii,"axG",@progbits,_ZN2at6native12_GLOBAL__N_140reflection_pad2d_backward_det_out_kernelIN3c108BFloat16EEEvPT_PKS5_lliiiiiii,comdat
.Lfunc_end21:
	.size	_ZN2at6native12_GLOBAL__N_140reflection_pad2d_backward_det_out_kernelIN3c108BFloat16EEEvPT_PKS5_lliiiiiii, .Lfunc_end21-_ZN2at6native12_GLOBAL__N_140reflection_pad2d_backward_det_out_kernelIN3c108BFloat16EEEvPT_PKS5_lliiiiiii
                                        ; -- End function
	.set _ZN2at6native12_GLOBAL__N_140reflection_pad2d_backward_det_out_kernelIN3c108BFloat16EEEvPT_PKS5_lliiiiiii.num_vgpr, 38
	.set _ZN2at6native12_GLOBAL__N_140reflection_pad2d_backward_det_out_kernelIN3c108BFloat16EEEvPT_PKS5_lliiiiiii.num_agpr, 0
	.set _ZN2at6native12_GLOBAL__N_140reflection_pad2d_backward_det_out_kernelIN3c108BFloat16EEEvPT_PKS5_lliiiiiii.numbered_sgpr, 73
	.set _ZN2at6native12_GLOBAL__N_140reflection_pad2d_backward_det_out_kernelIN3c108BFloat16EEEvPT_PKS5_lliiiiiii.num_named_barrier, 0
	.set _ZN2at6native12_GLOBAL__N_140reflection_pad2d_backward_det_out_kernelIN3c108BFloat16EEEvPT_PKS5_lliiiiiii.private_seg_size, 0
	.set _ZN2at6native12_GLOBAL__N_140reflection_pad2d_backward_det_out_kernelIN3c108BFloat16EEEvPT_PKS5_lliiiiiii.uses_vcc, 1
	.set _ZN2at6native12_GLOBAL__N_140reflection_pad2d_backward_det_out_kernelIN3c108BFloat16EEEvPT_PKS5_lliiiiiii.uses_flat_scratch, 0
	.set _ZN2at6native12_GLOBAL__N_140reflection_pad2d_backward_det_out_kernelIN3c108BFloat16EEEvPT_PKS5_lliiiiiii.has_dyn_sized_stack, 0
	.set _ZN2at6native12_GLOBAL__N_140reflection_pad2d_backward_det_out_kernelIN3c108BFloat16EEEvPT_PKS5_lliiiiiii.has_recursion, 0
	.set _ZN2at6native12_GLOBAL__N_140reflection_pad2d_backward_det_out_kernelIN3c108BFloat16EEEvPT_PKS5_lliiiiiii.has_indirect_call, 0
	.section	.AMDGPU.csdata,"",@progbits
; Kernel info:
; codeLenInByte = 6192
; TotalNumSgprs: 79
; NumVgprs: 38
; NumAgprs: 0
; TotalNumVgprs: 38
; ScratchSize: 0
; MemoryBound: 0
; FloatMode: 240
; IeeeMode: 1
; LDSByteSize: 0 bytes/workgroup (compile time only)
; SGPRBlocks: 9
; VGPRBlocks: 4
; NumSGPRsForWavesPerEU: 79
; NumVGPRsForWavesPerEU: 38
; AccumOffset: 40
; Occupancy: 8
; WaveLimiterHint : 0
; COMPUTE_PGM_RSRC2:SCRATCH_EN: 0
; COMPUTE_PGM_RSRC2:USER_SGPR: 2
; COMPUTE_PGM_RSRC2:TRAP_HANDLER: 0
; COMPUTE_PGM_RSRC2:TGID_X_EN: 1
; COMPUTE_PGM_RSRC2:TGID_Y_EN: 0
; COMPUTE_PGM_RSRC2:TGID_Z_EN: 0
; COMPUTE_PGM_RSRC2:TIDIG_COMP_CNT: 0
; COMPUTE_PGM_RSRC3_GFX90A:ACCUM_OFFSET: 9
; COMPUTE_PGM_RSRC3_GFX90A:TG_SPLIT: 0
	.section	.text._ZN2at6native12_GLOBAL__N_136reflection_pad2d_backward_out_kernelIN3c108BFloat16EEEvPT_PKS5_lliiiiiii,"axG",@progbits,_ZN2at6native12_GLOBAL__N_136reflection_pad2d_backward_out_kernelIN3c108BFloat16EEEvPT_PKS5_lliiiiiii,comdat
	.globl	_ZN2at6native12_GLOBAL__N_136reflection_pad2d_backward_out_kernelIN3c108BFloat16EEEvPT_PKS5_lliiiiiii ; -- Begin function _ZN2at6native12_GLOBAL__N_136reflection_pad2d_backward_out_kernelIN3c108BFloat16EEEvPT_PKS5_lliiiiiii
	.p2align	8
	.type	_ZN2at6native12_GLOBAL__N_136reflection_pad2d_backward_out_kernelIN3c108BFloat16EEEvPT_PKS5_lliiiiiii,@function
_ZN2at6native12_GLOBAL__N_136reflection_pad2d_backward_out_kernelIN3c108BFloat16EEEvPT_PKS5_lliiiiiii: ; @_ZN2at6native12_GLOBAL__N_136reflection_pad2d_backward_out_kernelIN3c108BFloat16EEEvPT_PKS5_lliiiiiii
; %bb.0:
	s_load_dword s5, s[0:1], 0x4c
	s_load_dwordx4 s[16:19], s[0:1], 0x20
	s_load_dwordx8 s[8:15], s[0:1], 0x0
	v_mov_b32_e32 v1, 0
	s_waitcnt lgkmcnt(0)
	s_and_b32 s5, s5, 0xffff
	s_ashr_i32 s7, s18, 31
	s_mul_i32 s2, s2, s5
	s_add_u32 s5, s12, s18
	s_mov_b32 s6, s18
	s_addc_u32 s30, s13, s7
	s_ashr_i32 s18, s19, 31
	v_add_u32_e32 v0, s2, v0
	s_add_u32 s2, s5, s19
	s_addc_u32 s21, s30, s18
	s_ashr_i32 s23, s16, 31
	s_add_u32 s34, s14, s16
	s_mov_b32 s22, s16
	s_addc_u32 s35, s15, s23
	s_ashr_i32 s16, s17, 31
	s_add_u32 s31, s34, s17
	s_addc_u32 s33, s35, s16
	s_mul_i32 s16, s2, s33
	s_mul_hi_u32 s17, s2, s31
	s_add_i32 s16, s17, s16
	s_mul_i32 s17, s21, s31
	s_add_i32 s17, s16, s17
	s_mul_i32 s16, s2, s31
	v_cmp_gt_i64_e32 vcc, s[16:17], v[0:1]
	s_and_saveexec_b64 s[16:17], vcc
	s_cbranch_execz .LBB22_6
; %bb.1:
	s_load_dwordx4 s[16:19], s[0:1], 0x30
	s_mov_b32 s20, 0
	s_cmp_lg_u64 s[20:21], 0
	s_cbranch_scc0 .LBB22_7
; %bb.2:
	s_ashr_i32 s24, s21, 31
	s_add_u32 s0, s2, s24
	s_mov_b32 s25, s24
	s_addc_u32 s1, s21, s24
	s_xor_b64 s[28:29], s[0:1], s[24:25]
	v_cvt_f32_u32_e32 v2, s28
	v_cvt_f32_u32_e32 v3, s29
	s_waitcnt lgkmcnt(0)
	s_sub_u32 s19, 0, s28
	s_subb_u32 s20, 0, s29
	v_lshl_add_u64 v[4:5], v[0:1], 0, 0
	v_fmamk_f32 v2, v3, 0x4f800000, v2
	v_rcp_f32_e32 v2, v2
	s_nop 0
	v_mul_f32_e32 v2, 0x5f7ffffc, v2
	v_mul_f32_e32 v3, 0x2f800000, v2
	v_trunc_f32_e32 v3, v3
	v_fmamk_f32 v2, v3, 0xcf800000, v2
	v_cvt_u32_f32_e32 v3, v3
	v_cvt_u32_f32_e32 v2, v2
	v_readfirstlane_b32 s25, v3
	v_readfirstlane_b32 s0, v2
	s_mul_i32 s1, s19, s25
	s_mul_hi_u32 s37, s19, s0
	s_mul_i32 s36, s20, s0
	s_add_i32 s1, s37, s1
	s_add_i32 s1, s1, s36
	s_mul_i32 s38, s19, s0
	s_mul_i32 s37, s0, s1
	s_mul_hi_u32 s39, s0, s38
	s_mul_hi_u32 s36, s0, s1
	s_add_u32 s37, s39, s37
	s_addc_u32 s36, 0, s36
	s_mul_hi_u32 s40, s25, s38
	s_mul_i32 s38, s25, s38
	s_add_u32 s37, s37, s38
	s_mul_hi_u32 s39, s25, s1
	s_addc_u32 s36, s36, s40
	s_addc_u32 s37, s39, 0
	s_mul_i32 s1, s25, s1
	s_add_u32 s1, s36, s1
	s_addc_u32 s36, 0, s37
	s_add_u32 s37, s0, s1
	s_cselect_b64 s[0:1], -1, 0
	s_cmp_lg_u64 s[0:1], 0
	s_addc_u32 s25, s25, s36
	s_mul_i32 s0, s19, s25
	s_mul_hi_u32 s1, s19, s37
	s_add_i32 s0, s1, s0
	s_mul_i32 s20, s20, s37
	s_add_i32 s0, s0, s20
	s_mul_i32 s19, s19, s37
	s_mul_hi_u32 s20, s25, s19
	s_mul_i32 s36, s25, s19
	s_mul_i32 s39, s37, s0
	s_mul_hi_u32 s19, s37, s19
	s_mul_hi_u32 s38, s37, s0
	s_add_u32 s19, s19, s39
	s_addc_u32 s38, 0, s38
	s_add_u32 s19, s19, s36
	s_mul_hi_u32 s1, s25, s0
	s_addc_u32 s19, s38, s20
	s_addc_u32 s1, s1, 0
	s_mul_i32 s0, s25, s0
	s_add_u32 s0, s19, s0
	s_addc_u32 s19, 0, s1
	s_add_u32 s20, s37, s0
	s_cselect_b64 s[0:1], -1, 0
	s_cmp_lg_u64 s[0:1], 0
	s_addc_u32 s19, s25, s19
	v_mov_b32_e32 v3, 0
	v_mad_u64_u32 v[6:7], s[0:1], v4, s19, 0
	v_mul_hi_u32 v2, v4, s20
	v_lshl_add_u64 v[6:7], v[2:3], 0, v[6:7]
	v_mad_u64_u32 v[10:11], s[0:1], v5, s20, 0
	v_add_co_u32_e32 v1, vcc, v6, v10
	v_mad_u64_u32 v[8:9], s[0:1], v5, s19, 0
	s_nop 0
	v_addc_co_u32_e32 v2, vcc, v7, v11, vcc
	s_nop 1
	v_addc_co_u32_e32 v9, vcc, 0, v9, vcc
	v_lshl_add_u64 v[2:3], v[2:3], 0, v[8:9]
	v_mul_lo_u32 v1, s29, v2
	v_mul_lo_u32 v8, s28, v3
	v_mad_u64_u32 v[6:7], s[0:1], s28, v2, 0
	v_add3_u32 v1, v7, v8, v1
	v_sub_u32_e32 v7, v5, v1
	v_mov_b32_e32 v8, s29
	v_sub_co_u32_e32 v4, vcc, v4, v6
	s_nop 1
	v_subb_co_u32_e64 v6, s[0:1], v7, v8, vcc
	v_subrev_co_u32_e64 v7, s[0:1], s28, v4
	v_subb_co_u32_e32 v1, vcc, v5, v1, vcc
	s_nop 0
	v_subbrev_co_u32_e64 v6, s[0:1], 0, v6, s[0:1]
	v_cmp_le_u32_e64 s[0:1], s29, v6
	v_cmp_le_u32_e32 vcc, s29, v1
	s_nop 0
	v_cndmask_b32_e64 v8, 0, -1, s[0:1]
	v_cmp_le_u32_e64 s[0:1], s28, v7
	v_cndmask_b32_e64 v5, 0, -1, vcc
	v_cmp_le_u32_e32 vcc, s28, v4
	v_cndmask_b32_e64 v7, 0, -1, s[0:1]
	v_cmp_eq_u32_e64 s[0:1], s29, v6
	v_cndmask_b32_e64 v4, 0, -1, vcc
	v_cmp_eq_u32_e32 vcc, s29, v1
	v_cndmask_b32_e64 v10, v8, v7, s[0:1]
	v_lshl_add_u64 v[6:7], v[2:3], 0, 2
	v_lshl_add_u64 v[8:9], v[2:3], 0, 1
	v_cmp_ne_u32_e64 s[0:1], 0, v10
	v_cndmask_b32_e32 v1, v5, v4, vcc
	v_cmp_ne_u32_e32 vcc, 0, v1
	v_cndmask_b32_e64 v7, v9, v7, s[0:1]
	s_nop 0
	v_cndmask_b32_e32 v1, v3, v7, vcc
	v_cndmask_b32_e64 v3, v8, v6, s[0:1]
	v_cndmask_b32_e32 v2, v2, v3, vcc
	v_xor_b32_e32 v2, s24, v2
	v_xor_b32_e32 v1, s24, v1
	v_mov_b32_e32 v3, s24
	v_subrev_co_u32_e32 v2, vcc, s24, v2
	s_nop 1
	v_subb_co_u32_e32 v3, vcc, v1, v3, vcc
	s_cbranch_execnz .LBB22_4
.LBB22_3:
	v_cvt_f32_u32_e32 v1, s2
	s_sub_i32 s0, 0, s2
	v_rcp_iflag_f32_e32 v1, v1
	s_nop 0
	v_mul_f32_e32 v1, 0x4f7ffffe, v1
	v_cvt_u32_f32_e32 v1, v1
	v_mul_lo_u32 v2, s0, v1
	v_mul_hi_u32 v2, v1, v2
	v_add_u32_e32 v1, v1, v2
	v_mul_hi_u32 v1, v0, v1
	v_mul_lo_u32 v2, v1, s2
	v_sub_u32_e32 v2, v0, v2
	v_add_u32_e32 v3, 1, v1
	v_subrev_u32_e32 v4, s2, v2
	v_cmp_le_u32_e32 vcc, s2, v2
	s_nop 1
	v_cndmask_b32_e32 v2, v2, v4, vcc
	v_cndmask_b32_e32 v1, v1, v3, vcc
	v_add_u32_e32 v3, 1, v1
	v_cmp_le_u32_e32 vcc, s2, v2
	s_nop 1
	v_cndmask_b32_e32 v2, v1, v3, vcc
	v_mov_b32_e32 v3, 0
.LBB22_4:
	v_mov_b32_e32 v4, s8
	v_mov_b32_e32 v5, s9
	v_mul_lo_u32 v1, v3, s2
	v_mul_lo_u32 v10, v2, s21
	v_mad_u64_u32 v[8:9], s[8:9], v2, s2, 0
	v_add3_u32 v1, v9, v10, v1
	v_sub_co_u32_e32 v0, vcc, v0, v8
	v_mov_b32_e32 v8, s7
	s_nop 0
	v_subb_co_u32_e32 v1, vcc, 0, v1, vcc
	v_subrev_co_u32_e32 v9, vcc, s6, v0
	s_sub_u32 s0, 0, s22
	s_nop 0
	v_subb_co_u32_e32 v8, vcc, v1, v8, vcc
	v_ashrrev_i32_e32 v10, 31, v8
	v_xor_b32_e32 v11, v8, v10
	v_xor_b32_e32 v8, v9, v10
	s_subb_u32 s1, 0, s23
	v_sub_co_u32_e32 v8, vcc, v8, v10
	s_sub_u32 s24, 0, s6
	s_nop 0
	v_subb_co_u32_e32 v9, vcc, v11, v10, vcc
	s_subb_u32 s25, 0, s7
	s_waitcnt lgkmcnt(0)
	s_add_i32 s4, s17, s4
	v_mov_b32_e32 v11, s30
	v_subrev_co_u32_e32 v10, vcc, s5, v0
	s_add_i32 s3, s16, s3
	s_mul_i32 s4, s4, s18
	v_subb_co_u32_e32 v11, vcc, v1, v11, vcc
	s_add_i32 s3, s3, s4
	v_lshl_add_u64 v[10:11], v[10:11], 0, 1
	s_mul_i32 s4, s15, s3
	s_mul_hi_u32 s15, s14, s3
	v_ashrrev_i32_e32 v12, 31, v11
	s_add_i32 s15, s15, s4
	v_cmp_gt_i64_e64 s[8:9], s[24:25], 0
	v_xor_b32_e32 v10, v10, v12
	s_and_b64 s[8:9], s[8:9], exec
	v_xor_b32_e32 v11, v11, v12
	v_sub_co_u32_e32 v10, vcc, v10, v12
	v_cmp_gt_i64_e64 s[8:9], s[0:1], 0
	s_nop 0
	v_subb_co_u32_e32 v11, vcc, v11, v12, vcc
	v_mov_b32_e32 v6, s10
	v_mov_b32_e32 v7, s11
	s_cselect_b32 s10, s25, 0
	s_cselect_b32 s11, s24, 0
	s_and_b64 s[8:9], s[8:9], exec
	v_mov_b32_e32 v12, s23
	v_subrev_co_u32_e32 v13, vcc, s22, v2
	s_mul_i32 s4, s14, s3
	s_cselect_b32 s14, s1, 0
	s_cselect_b32 s16, s0, 0
	v_cmp_gt_i64_e64 s[0:1], s[6:7], 0
	v_subb_co_u32_e32 v12, vcc, v3, v12, vcc
	s_and_b64 s[0:1], s[0:1], exec
	v_cmp_gt_i64_e64 s[8:9], s[22:23], 0
	v_ashrrev_i32_e32 v14, 31, v12
	s_cselect_b32 s1, s7, 0
	s_cselect_b32 s0, s6, 0
	s_and_b64 s[8:9], s[8:9], exec
	v_xor_b32_e32 v15, v12, v14
	v_xor_b32_e32 v12, v13, v14
	s_cselect_b32 s9, s23, 0
	s_cselect_b32 s8, s22, 0
	v_sub_co_u32_e32 v12, vcc, v12, v14
	s_not_b64 s[8:9], s[8:9]
	s_nop 0
	v_subb_co_u32_e32 v13, vcc, v15, v14, vcc
	v_mov_b32_e32 v15, s35
	v_subrev_co_u32_e32 v14, vcc, s34, v2
	s_add_u32 s17, s34, s22
	s_nop 0
	v_subb_co_u32_e32 v15, vcc, v3, v15, vcc
	s_addc_u32 s18, s35, s23
	v_lshl_add_u64 v[14:15], v[14:15], 0, 1
	s_add_u32 s8, s17, s8
	v_ashrrev_i32_e32 v16, 31, v15
	s_addc_u32 s9, s18, s9
	v_xor_b32_e32 v14, v14, v16
	s_add_u32 s8, s8, s16
	v_xor_b32_e32 v15, v15, v16
	v_sub_co_u32_e32 v14, vcc, v14, v16
	s_addc_u32 s9, s9, s14
	s_nop 0
	v_subb_co_u32_e32 v15, vcc, v15, v16, vcc
	s_add_u32 s4, s8, s4
	s_addc_u32 s8, s9, s15
	v_lshl_add_u64 v[14:15], v[2:3], 0, v[14:15]
	v_mov_b32_e32 v16, s8
	v_sub_co_u32_e32 v14, vcc, s4, v14
	s_add_u32 s6, s5, s6
	s_nop 0
	v_subb_co_u32_e32 v15, vcc, v16, v15, vcc
	v_lshl_add_u64 v[12:13], v[14:15], 0, v[12:13]
	v_mul_lo_u32 v14, v13, s12
	v_mul_lo_u32 v15, v12, s13
	v_mad_u64_u32 v[12:13], s[8:9], v12, s12, 0
	s_addc_u32 s7, s30, s7
	s_not_b64 s[0:1], s[0:1]
	v_add3_u32 v13, v13, v15, v14
	v_mov_b32_e32 v14, s3
	s_add_u32 s0, s6, s0
	s_mul_i32 s33, s33, s3
	v_mad_u64_u32 v[2:3], s[4:5], s31, v14, v[2:3]
	s_addc_u32 s1, s7, s1
	v_add_u32_e32 v3, s33, v3
	s_add_u32 s0, s0, s11
	v_lshl_add_u64 v[10:11], v[0:1], 0, v[10:11]
	v_mul_lo_u32 v14, v3, s2
	v_mul_lo_u32 v15, v2, s21
	v_mad_u64_u32 v[2:3], s[2:3], v2, s2, 0
	s_addc_u32 s1, s1, s10
	v_add3_u32 v3, v3, v15, v14
	v_mov_b32_e32 v14, s1
	v_sub_co_u32_e32 v10, vcc, s0, v10
	v_lshl_add_u64 v[2:3], v[2:3], 1, v[6:7]
	s_nop 0
	v_subb_co_u32_e32 v11, vcc, v14, v11, vcc
	v_lshl_add_u64 v[4:5], v[10:11], 1, v[4:5]
	v_lshl_add_u64 v[4:5], v[8:9], 1, v[4:5]
	;; [unrolled: 1-line block ×4, first 2 shown]
	v_and_b32_e32 v6, 2, v4
	global_load_ushort v2, v[0:1], off
	v_sub_co_u32_e32 v0, vcc, 0, v6
	v_mov_b32_e32 v7, 0
	s_nop 0
	v_subb_co_u32_e64 v1, s[0:1], 0, 0, vcc
	v_lshl_add_u64 v[0:1], v[4:5], 0, v[0:1]
	global_load_dword v3, v[0:1], off
	s_mov_b64 s[2:3], 0
	v_cmp_eq_u64_e64 s[0:1], 0, v[6:7]
	s_movk_i32 s4, 0x7fff
	s_mov_b32 s5, 0xffff0000
	v_mov_b32_e32 v5, 0x7fc0
	s_waitcnt vmcnt(1)
	v_lshlrev_b32_e32 v4, 16, v2
.LBB22_5:                               ; =>This Inner Loop Header: Depth=1
	s_mov_b64 vcc, s[0:1]
	s_waitcnt vmcnt(0)
	v_and_b32_e32 v2, 0xffff, v3
	v_cndmask_b32_sdwa v6, v3, v2, vcc dst_sel:WORD_1 dst_unused:UNUSED_PAD src0_sel:WORD_1 src1_sel:DWORD
	s_nop 0
	v_add_f32_e32 v6, v4, v6
	v_bfe_u32 v7, v6, 16, 1
	v_cmp_o_f32_e32 vcc, v6, v6
	v_add3_u32 v6, v6, v7, s4
	s_nop 0
	v_cndmask_b32_sdwa v6, v5, v6, vcc dst_sel:DWORD dst_unused:UNUSED_PAD src0_sel:DWORD src1_sel:WORD_1
	v_lshl_or_b32 v2, v6, 16, v2
	v_and_or_b32 v6, v3, s5, v6
	v_cndmask_b32_e64 v2, v2, v6, s[0:1]
	global_atomic_cmpswap v2, v[0:1], v[2:3], off sc0
	s_waitcnt vmcnt(0)
	v_cmp_eq_u32_e32 vcc, v3, v2
	s_or_b64 s[2:3], vcc, s[2:3]
	v_mov_b32_e32 v3, v2
	s_andn2_b64 exec, exec, s[2:3]
	s_cbranch_execnz .LBB22_5
.LBB22_6:
	s_endpgm
.LBB22_7:
                                        ; implicit-def: $vgpr2_vgpr3
	s_branch .LBB22_3
	.section	.rodata,"a",@progbits
	.p2align	6, 0x0
	.amdhsa_kernel _ZN2at6native12_GLOBAL__N_136reflection_pad2d_backward_out_kernelIN3c108BFloat16EEEvPT_PKS5_lliiiiiii
		.amdhsa_group_segment_fixed_size 0
		.amdhsa_private_segment_fixed_size 0
		.amdhsa_kernarg_size 320
		.amdhsa_user_sgpr_count 2
		.amdhsa_user_sgpr_dispatch_ptr 0
		.amdhsa_user_sgpr_queue_ptr 0
		.amdhsa_user_sgpr_kernarg_segment_ptr 1
		.amdhsa_user_sgpr_dispatch_id 0
		.amdhsa_user_sgpr_kernarg_preload_length 0
		.amdhsa_user_sgpr_kernarg_preload_offset 0
		.amdhsa_user_sgpr_private_segment_size 0
		.amdhsa_uses_dynamic_stack 0
		.amdhsa_enable_private_segment 0
		.amdhsa_system_sgpr_workgroup_id_x 1
		.amdhsa_system_sgpr_workgroup_id_y 1
		.amdhsa_system_sgpr_workgroup_id_z 1
		.amdhsa_system_sgpr_workgroup_info 0
		.amdhsa_system_vgpr_workitem_id 0
		.amdhsa_next_free_vgpr 17
		.amdhsa_next_free_sgpr 41
		.amdhsa_accum_offset 20
		.amdhsa_reserve_vcc 1
		.amdhsa_float_round_mode_32 0
		.amdhsa_float_round_mode_16_64 0
		.amdhsa_float_denorm_mode_32 3
		.amdhsa_float_denorm_mode_16_64 3
		.amdhsa_dx10_clamp 1
		.amdhsa_ieee_mode 1
		.amdhsa_fp16_overflow 0
		.amdhsa_tg_split 0
		.amdhsa_exception_fp_ieee_invalid_op 0
		.amdhsa_exception_fp_denorm_src 0
		.amdhsa_exception_fp_ieee_div_zero 0
		.amdhsa_exception_fp_ieee_overflow 0
		.amdhsa_exception_fp_ieee_underflow 0
		.amdhsa_exception_fp_ieee_inexact 0
		.amdhsa_exception_int_div_zero 0
	.end_amdhsa_kernel
	.section	.text._ZN2at6native12_GLOBAL__N_136reflection_pad2d_backward_out_kernelIN3c108BFloat16EEEvPT_PKS5_lliiiiiii,"axG",@progbits,_ZN2at6native12_GLOBAL__N_136reflection_pad2d_backward_out_kernelIN3c108BFloat16EEEvPT_PKS5_lliiiiiii,comdat
.Lfunc_end22:
	.size	_ZN2at6native12_GLOBAL__N_136reflection_pad2d_backward_out_kernelIN3c108BFloat16EEEvPT_PKS5_lliiiiiii, .Lfunc_end22-_ZN2at6native12_GLOBAL__N_136reflection_pad2d_backward_out_kernelIN3c108BFloat16EEEvPT_PKS5_lliiiiiii
                                        ; -- End function
	.set _ZN2at6native12_GLOBAL__N_136reflection_pad2d_backward_out_kernelIN3c108BFloat16EEEvPT_PKS5_lliiiiiii.num_vgpr, 17
	.set _ZN2at6native12_GLOBAL__N_136reflection_pad2d_backward_out_kernelIN3c108BFloat16EEEvPT_PKS5_lliiiiiii.num_agpr, 0
	.set _ZN2at6native12_GLOBAL__N_136reflection_pad2d_backward_out_kernelIN3c108BFloat16EEEvPT_PKS5_lliiiiiii.numbered_sgpr, 41
	.set _ZN2at6native12_GLOBAL__N_136reflection_pad2d_backward_out_kernelIN3c108BFloat16EEEvPT_PKS5_lliiiiiii.num_named_barrier, 0
	.set _ZN2at6native12_GLOBAL__N_136reflection_pad2d_backward_out_kernelIN3c108BFloat16EEEvPT_PKS5_lliiiiiii.private_seg_size, 0
	.set _ZN2at6native12_GLOBAL__N_136reflection_pad2d_backward_out_kernelIN3c108BFloat16EEEvPT_PKS5_lliiiiiii.uses_vcc, 1
	.set _ZN2at6native12_GLOBAL__N_136reflection_pad2d_backward_out_kernelIN3c108BFloat16EEEvPT_PKS5_lliiiiiii.uses_flat_scratch, 0
	.set _ZN2at6native12_GLOBAL__N_136reflection_pad2d_backward_out_kernelIN3c108BFloat16EEEvPT_PKS5_lliiiiiii.has_dyn_sized_stack, 0
	.set _ZN2at6native12_GLOBAL__N_136reflection_pad2d_backward_out_kernelIN3c108BFloat16EEEvPT_PKS5_lliiiiiii.has_recursion, 0
	.set _ZN2at6native12_GLOBAL__N_136reflection_pad2d_backward_out_kernelIN3c108BFloat16EEEvPT_PKS5_lliiiiiii.has_indirect_call, 0
	.section	.AMDGPU.csdata,"",@progbits
; Kernel info:
; codeLenInByte = 1712
; TotalNumSgprs: 47
; NumVgprs: 17
; NumAgprs: 0
; TotalNumVgprs: 17
; ScratchSize: 0
; MemoryBound: 0
; FloatMode: 240
; IeeeMode: 1
; LDSByteSize: 0 bytes/workgroup (compile time only)
; SGPRBlocks: 5
; VGPRBlocks: 2
; NumSGPRsForWavesPerEU: 47
; NumVGPRsForWavesPerEU: 17
; AccumOffset: 20
; Occupancy: 8
; WaveLimiterHint : 0
; COMPUTE_PGM_RSRC2:SCRATCH_EN: 0
; COMPUTE_PGM_RSRC2:USER_SGPR: 2
; COMPUTE_PGM_RSRC2:TRAP_HANDLER: 0
; COMPUTE_PGM_RSRC2:TGID_X_EN: 1
; COMPUTE_PGM_RSRC2:TGID_Y_EN: 1
; COMPUTE_PGM_RSRC2:TGID_Z_EN: 1
; COMPUTE_PGM_RSRC2:TIDIG_COMP_CNT: 0
; COMPUTE_PGM_RSRC3_GFX90A:ACCUM_OFFSET: 4
; COMPUTE_PGM_RSRC3_GFX90A:TG_SPLIT: 0
	.section	.text._ZN2at6native12_GLOBAL__N_127reflection_pad1d_out_kernelIhEEvPKT_PS3_lll,"axG",@progbits,_ZN2at6native12_GLOBAL__N_127reflection_pad1d_out_kernelIhEEvPKT_PS3_lll,comdat
	.globl	_ZN2at6native12_GLOBAL__N_127reflection_pad1d_out_kernelIhEEvPKT_PS3_lll ; -- Begin function _ZN2at6native12_GLOBAL__N_127reflection_pad1d_out_kernelIhEEvPKT_PS3_lll
	.p2align	8
	.type	_ZN2at6native12_GLOBAL__N_127reflection_pad1d_out_kernelIhEEvPKT_PS3_lll,@function
_ZN2at6native12_GLOBAL__N_127reflection_pad1d_out_kernelIhEEvPKT_PS3_lll: ; @_ZN2at6native12_GLOBAL__N_127reflection_pad1d_out_kernelIhEEvPKT_PS3_lll
; %bb.0:
	s_load_dword s5, s[0:1], 0x34
	s_load_dwordx2 s[16:17], s[0:1], 0x20
	s_load_dwordx8 s[8:15], s[0:1], 0x0
	s_add_u32 s6, s0, 40
	s_addc_u32 s7, s1, 0
	s_waitcnt lgkmcnt(0)
	s_and_b32 s0, s5, 0xffff
	v_mov_b32_e32 v1, 0
	v_mov_b32_e32 v2, s2
	s_add_u32 s2, s14, s12
	v_mad_u64_u32 v[0:1], s[0:1], s0, v2, v[0:1]
	s_addc_u32 s5, s15, s13
	s_add_u32 s0, s2, s16
	s_addc_u32 s1, s5, s17
	v_cmp_gt_i64_e32 vcc, s[0:1], v[0:1]
	s_and_saveexec_b64 s[16:17], vcc
	s_cbranch_execz .LBB23_2
; %bb.1:
	s_load_dword s18, s[6:7], 0x4
	s_sub_u32 s6, 0, s14
	s_subb_u32 s7, 0, s15
	v_mov_b32_e32 v2, s15
	v_subrev_co_u32_e32 v3, vcc, s14, v0
	s_waitcnt lgkmcnt(0)
	s_mul_i32 s4, s18, s4
	s_add_i32 s4, s4, s3
	s_mul_i32 s1, s1, s4
	s_mul_hi_u32 s3, s0, s4
	v_subb_co_u32_e32 v2, vcc, v1, v2, vcc
	v_cmp_gt_i64_e64 s[16:17], s[6:7], 0
	s_add_i32 s1, s3, s1
	v_ashrrev_i32_e32 v4, 31, v2
	s_and_b64 s[16:17], s[16:17], exec
	v_xor_b32_e32 v5, v2, v4
	v_xor_b32_e32 v2, v3, v4
	s_cselect_b32 s3, s7, 0
	s_cselect_b32 s16, s6, 0
	v_cmp_gt_i64_e64 s[6:7], s[14:15], 0
	v_sub_co_u32_e32 v2, vcc, v2, v4
	s_and_b64 s[6:7], s[6:7], exec
	s_nop 0
	v_subb_co_u32_e32 v3, vcc, v5, v4, vcc
	s_cselect_b32 s7, s15, 0
	s_cselect_b32 s6, s14, 0
	v_mov_b32_e32 v5, s5
	v_subrev_co_u32_e32 v4, vcc, s2, v0
	s_not_b64 s[6:7], s[6:7]
	s_nop 0
	v_subb_co_u32_e32 v5, vcc, v1, v5, vcc
	v_lshl_add_u64 v[4:5], v[4:5], 0, 1
	s_add_u32 s2, s2, s14
	v_ashrrev_i32_e32 v6, 31, v5
	s_addc_u32 s5, s5, s15
	v_xor_b32_e32 v4, v4, v6
	s_add_u32 s2, s2, s6
	v_xor_b32_e32 v5, v5, v6
	v_sub_co_u32_e32 v4, vcc, v4, v6
	s_addc_u32 s5, s5, s7
	s_nop 0
	v_subb_co_u32_e32 v5, vcc, v5, v6, vcc
	s_add_u32 s2, s2, s16
	s_addc_u32 s3, s5, s3
	v_lshl_add_u64 v[4:5], v[0:1], 0, v[4:5]
	v_mov_b32_e32 v6, s3
	v_sub_co_u32_e32 v4, vcc, s2, v4
	s_mul_i32 s0, s0, s4
	s_nop 0
	v_subb_co_u32_e32 v5, vcc, v6, v5, vcc
	v_lshl_add_u64 v[4:5], s[8:9], 0, v[4:5]
	v_lshl_add_u64 v[2:3], v[4:5], 0, v[2:3]
	v_mov_b32_e32 v4, s4
	v_mad_u64_u32 v[2:3], s[2:3], s12, v4, v[2:3]
	s_mul_i32 s2, s13, s4
	s_nop 0
	v_add_u32_e32 v3, s2, v3
	global_load_ubyte v2, v[2:3], off
	s_add_u32 s0, s10, s0
	s_addc_u32 s1, s11, s1
	v_lshl_add_u64 v[0:1], s[0:1], 0, v[0:1]
	s_waitcnt vmcnt(0)
	global_store_byte v[0:1], v2, off
.LBB23_2:
	s_endpgm
	.section	.rodata,"a",@progbits
	.p2align	6, 0x0
	.amdhsa_kernel _ZN2at6native12_GLOBAL__N_127reflection_pad1d_out_kernelIhEEvPKT_PS3_lll
		.amdhsa_group_segment_fixed_size 0
		.amdhsa_private_segment_fixed_size 0
		.amdhsa_kernarg_size 296
		.amdhsa_user_sgpr_count 2
		.amdhsa_user_sgpr_dispatch_ptr 0
		.amdhsa_user_sgpr_queue_ptr 0
		.amdhsa_user_sgpr_kernarg_segment_ptr 1
		.amdhsa_user_sgpr_dispatch_id 0
		.amdhsa_user_sgpr_kernarg_preload_length 0
		.amdhsa_user_sgpr_kernarg_preload_offset 0
		.amdhsa_user_sgpr_private_segment_size 0
		.amdhsa_uses_dynamic_stack 0
		.amdhsa_enable_private_segment 0
		.amdhsa_system_sgpr_workgroup_id_x 1
		.amdhsa_system_sgpr_workgroup_id_y 1
		.amdhsa_system_sgpr_workgroup_id_z 1
		.amdhsa_system_sgpr_workgroup_info 0
		.amdhsa_system_vgpr_workitem_id 0
		.amdhsa_next_free_vgpr 7
		.amdhsa_next_free_sgpr 19
		.amdhsa_accum_offset 8
		.amdhsa_reserve_vcc 1
		.amdhsa_float_round_mode_32 0
		.amdhsa_float_round_mode_16_64 0
		.amdhsa_float_denorm_mode_32 3
		.amdhsa_float_denorm_mode_16_64 3
		.amdhsa_dx10_clamp 1
		.amdhsa_ieee_mode 1
		.amdhsa_fp16_overflow 0
		.amdhsa_tg_split 0
		.amdhsa_exception_fp_ieee_invalid_op 0
		.amdhsa_exception_fp_denorm_src 0
		.amdhsa_exception_fp_ieee_div_zero 0
		.amdhsa_exception_fp_ieee_overflow 0
		.amdhsa_exception_fp_ieee_underflow 0
		.amdhsa_exception_fp_ieee_inexact 0
		.amdhsa_exception_int_div_zero 0
	.end_amdhsa_kernel
	.section	.text._ZN2at6native12_GLOBAL__N_127reflection_pad1d_out_kernelIhEEvPKT_PS3_lll,"axG",@progbits,_ZN2at6native12_GLOBAL__N_127reflection_pad1d_out_kernelIhEEvPKT_PS3_lll,comdat
.Lfunc_end23:
	.size	_ZN2at6native12_GLOBAL__N_127reflection_pad1d_out_kernelIhEEvPKT_PS3_lll, .Lfunc_end23-_ZN2at6native12_GLOBAL__N_127reflection_pad1d_out_kernelIhEEvPKT_PS3_lll
                                        ; -- End function
	.set _ZN2at6native12_GLOBAL__N_127reflection_pad1d_out_kernelIhEEvPKT_PS3_lll.num_vgpr, 7
	.set _ZN2at6native12_GLOBAL__N_127reflection_pad1d_out_kernelIhEEvPKT_PS3_lll.num_agpr, 0
	.set _ZN2at6native12_GLOBAL__N_127reflection_pad1d_out_kernelIhEEvPKT_PS3_lll.numbered_sgpr, 19
	.set _ZN2at6native12_GLOBAL__N_127reflection_pad1d_out_kernelIhEEvPKT_PS3_lll.num_named_barrier, 0
	.set _ZN2at6native12_GLOBAL__N_127reflection_pad1d_out_kernelIhEEvPKT_PS3_lll.private_seg_size, 0
	.set _ZN2at6native12_GLOBAL__N_127reflection_pad1d_out_kernelIhEEvPKT_PS3_lll.uses_vcc, 1
	.set _ZN2at6native12_GLOBAL__N_127reflection_pad1d_out_kernelIhEEvPKT_PS3_lll.uses_flat_scratch, 0
	.set _ZN2at6native12_GLOBAL__N_127reflection_pad1d_out_kernelIhEEvPKT_PS3_lll.has_dyn_sized_stack, 0
	.set _ZN2at6native12_GLOBAL__N_127reflection_pad1d_out_kernelIhEEvPKT_PS3_lll.has_recursion, 0
	.set _ZN2at6native12_GLOBAL__N_127reflection_pad1d_out_kernelIhEEvPKT_PS3_lll.has_indirect_call, 0
	.section	.AMDGPU.csdata,"",@progbits
; Kernel info:
; codeLenInByte = 388
; TotalNumSgprs: 25
; NumVgprs: 7
; NumAgprs: 0
; TotalNumVgprs: 7
; ScratchSize: 0
; MemoryBound: 0
; FloatMode: 240
; IeeeMode: 1
; LDSByteSize: 0 bytes/workgroup (compile time only)
; SGPRBlocks: 3
; VGPRBlocks: 0
; NumSGPRsForWavesPerEU: 25
; NumVGPRsForWavesPerEU: 7
; AccumOffset: 8
; Occupancy: 8
; WaveLimiterHint : 0
; COMPUTE_PGM_RSRC2:SCRATCH_EN: 0
; COMPUTE_PGM_RSRC2:USER_SGPR: 2
; COMPUTE_PGM_RSRC2:TRAP_HANDLER: 0
; COMPUTE_PGM_RSRC2:TGID_X_EN: 1
; COMPUTE_PGM_RSRC2:TGID_Y_EN: 1
; COMPUTE_PGM_RSRC2:TGID_Z_EN: 1
; COMPUTE_PGM_RSRC2:TIDIG_COMP_CNT: 0
; COMPUTE_PGM_RSRC3_GFX90A:ACCUM_OFFSET: 1
; COMPUTE_PGM_RSRC3_GFX90A:TG_SPLIT: 0
	.section	.text._ZN2at6native12_GLOBAL__N_121reflection_pad1d_flatIhEEvPKT_PS3_lllll,"axG",@progbits,_ZN2at6native12_GLOBAL__N_121reflection_pad1d_flatIhEEvPKT_PS3_lllll,comdat
	.globl	_ZN2at6native12_GLOBAL__N_121reflection_pad1d_flatIhEEvPKT_PS3_lllll ; -- Begin function _ZN2at6native12_GLOBAL__N_121reflection_pad1d_flatIhEEvPKT_PS3_lllll
	.p2align	8
	.type	_ZN2at6native12_GLOBAL__N_121reflection_pad1d_flatIhEEvPKT_PS3_lllll,@function
_ZN2at6native12_GLOBAL__N_121reflection_pad1d_flatIhEEvPKT_PS3_lllll: ; @_ZN2at6native12_GLOBAL__N_121reflection_pad1d_flatIhEEvPKT_PS3_lllll
; %bb.0:
	s_load_dword s3, s[0:1], 0x44
	s_load_dwordx4 s[8:11], s[0:1], 0x28
	s_add_u32 s4, s0, 56
	s_addc_u32 s5, s1, 0
	v_mov_b32_e32 v1, 0
	s_waitcnt lgkmcnt(0)
	s_and_b32 s3, s3, 0xffff
	s_mul_i32 s6, s10, s9
	s_mul_hi_u32 s7, s10, s8
	s_add_i32 s6, s7, s6
	s_mul_i32 s7, s11, s8
	v_mov_b32_e32 v2, s2
	s_add_i32 s7, s6, s7
	s_mul_i32 s6, s10, s8
	v_mad_u64_u32 v[2:3], s[10:11], s3, v2, v[0:1]
	v_cmp_gt_i64_e32 vcc, s[6:7], v[2:3]
	s_and_saveexec_b64 s[10:11], vcc
	s_cbranch_execz .LBB24_64
; %bb.1:
	s_load_dword s56, s[4:5], 0x0
	v_mov_b32_e32 v4, s3
	s_mov_b32 s57, 0
	v_mov_b32_e32 v5, s57
	s_waitcnt lgkmcnt(0)
	s_add_u32 s28, s2, s56
	s_addc_u32 s29, 0, 0
	s_mul_i32 s29, s29, s3
	v_mad_u64_u32 v[6:7], s[4:5], s28, v4, v[0:1]
	v_add_u32_e32 v7, s29, v7
	v_mov_b32_e32 v4, s7
	v_cmp_gt_i64_e32 vcc, s[6:7], v[6:7]
	s_mul_hi_u32 s11, s3, s56
	s_mul_i32 s10, s3, s56
	v_cndmask_b32_e32 v9, v7, v4, vcc
	v_mov_b32_e32 v4, s6
	v_cndmask_b32_e32 v8, v6, v4, vcc
	v_cndmask_b32_e64 v4, 0, 1, vcc
	v_lshl_add_u64 v[6:7], v[6:7], 0, v[4:5]
	v_sub_co_u32_e32 v8, vcc, v8, v6
	v_mov_b32_e32 v6, v1
	s_nop 0
	v_subb_co_u32_e32 v9, vcc, v9, v7, vcc
	v_or_b32_e32 v7, s11, v9
	v_cmp_ne_u64_e32 vcc, 0, v[6:7]
                                        ; implicit-def: $vgpr6_vgpr7
	s_and_saveexec_b64 s[4:5], vcc
	s_xor_b64 s[12:13], exec, s[4:5]
	s_cbranch_execz .LBB24_3
; %bb.2:
	v_cvt_f32_u32_e32 v6, s10
	v_cvt_f32_u32_e32 v7, s11
	s_sub_u32 s14, 0, s10
	s_subb_u32 s15, 0, s11
	v_mov_b32_e32 v11, 0
	v_fmamk_f32 v6, v7, 0x4f800000, v6
	v_rcp_f32_e32 v6, v6
	s_nop 0
	v_mul_f32_e32 v6, 0x5f7ffffc, v6
	v_mul_f32_e32 v7, 0x2f800000, v6
	v_trunc_f32_e32 v7, v7
	v_fmamk_f32 v6, v7, 0xcf800000, v6
	v_cvt_u32_f32_e32 v7, v7
	v_cvt_u32_f32_e32 v6, v6
	v_readfirstlane_b32 s16, v7
	v_readfirstlane_b32 s4, v6
	s_mul_i32 s5, s14, s16
	s_mul_hi_u32 s18, s14, s4
	s_mul_i32 s17, s15, s4
	s_add_i32 s5, s18, s5
	s_mul_i32 s19, s14, s4
	s_add_i32 s5, s5, s17
	s_mul_i32 s18, s4, s5
	s_mul_hi_u32 s20, s4, s19
	s_mul_hi_u32 s17, s4, s5
	s_add_u32 s18, s20, s18
	s_addc_u32 s17, 0, s17
	s_mul_hi_u32 s21, s16, s19
	s_mul_i32 s19, s16, s19
	s_add_u32 s18, s18, s19
	s_mul_hi_u32 s20, s16, s5
	s_addc_u32 s17, s17, s21
	s_addc_u32 s18, s20, 0
	s_mul_i32 s5, s16, s5
	s_add_u32 s5, s17, s5
	s_addc_u32 s17, 0, s18
	s_add_u32 s18, s4, s5
	s_cselect_b64 s[4:5], -1, 0
	s_cmp_lg_u64 s[4:5], 0
	s_addc_u32 s16, s16, s17
	s_mul_i32 s4, s14, s16
	s_mul_hi_u32 s5, s14, s18
	s_add_i32 s4, s5, s4
	s_mul_i32 s15, s15, s18
	s_add_i32 s4, s4, s15
	s_mul_i32 s14, s14, s18
	s_mul_hi_u32 s15, s16, s14
	s_mul_i32 s17, s16, s14
	s_mul_i32 s20, s18, s4
	s_mul_hi_u32 s14, s18, s14
	s_mul_hi_u32 s19, s18, s4
	s_add_u32 s14, s14, s20
	s_addc_u32 s19, 0, s19
	s_add_u32 s14, s14, s17
	s_mul_hi_u32 s5, s16, s4
	s_addc_u32 s14, s19, s15
	s_addc_u32 s5, s5, 0
	s_mul_i32 s4, s16, s4
	s_add_u32 s4, s14, s4
	s_addc_u32 s14, 0, s5
	s_add_u32 s15, s18, s4
	s_cselect_b64 s[4:5], -1, 0
	s_cmp_lg_u64 s[4:5], 0
	s_addc_u32 s14, s16, s14
	v_mad_u64_u32 v[6:7], s[4:5], v8, s14, 0
	v_mul_hi_u32 v10, v8, s15
	v_lshl_add_u64 v[6:7], v[10:11], 0, v[6:7]
	v_mad_u64_u32 v[14:15], s[4:5], v9, s15, 0
	v_add_co_u32_e32 v6, vcc, v6, v14
	v_mad_u64_u32 v[12:13], s[4:5], v9, s14, 0
	s_nop 0
	v_addc_co_u32_e32 v10, vcc, v7, v15, vcc
	s_nop 1
	v_addc_co_u32_e32 v13, vcc, 0, v13, vcc
	v_lshl_add_u64 v[6:7], v[10:11], 0, v[12:13]
	v_mul_lo_u32 v12, s11, v6
	v_mul_lo_u32 v13, s10, v7
	v_mad_u64_u32 v[10:11], s[4:5], s10, v6, 0
	v_add3_u32 v14, v11, v13, v12
	v_sub_u32_e32 v11, v9, v14
	v_mov_b32_e32 v12, s11
	v_sub_co_u32_e32 v8, vcc, v8, v10
	s_nop 1
	v_subb_co_u32_e64 v10, s[4:5], v11, v12, vcc
	v_subrev_co_u32_e64 v11, s[4:5], s10, v8
	v_subb_co_u32_e32 v9, vcc, v9, v14, vcc
	s_nop 0
	v_subbrev_co_u32_e64 v10, s[4:5], 0, v10, s[4:5]
	v_cmp_le_u32_e64 s[4:5], s11, v10
	v_cmp_le_u32_e32 vcc, s11, v9
	s_nop 0
	v_cndmask_b32_e64 v12, 0, -1, s[4:5]
	v_cmp_le_u32_e64 s[4:5], s10, v11
	s_nop 1
	v_cndmask_b32_e64 v11, 0, -1, s[4:5]
	v_cmp_eq_u32_e64 s[4:5], s11, v10
	s_nop 1
	v_cndmask_b32_e64 v15, v12, v11, s[4:5]
	v_lshl_add_u64 v[10:11], v[6:7], 0, 2
	v_lshl_add_u64 v[12:13], v[6:7], 0, 1
	v_cmp_ne_u32_e64 s[4:5], 0, v15
	s_nop 1
	v_cndmask_b32_e64 v11, v13, v11, s[4:5]
	v_cndmask_b32_e64 v13, 0, -1, vcc
	v_cmp_le_u32_e32 vcc, s10, v8
	s_nop 1
	v_cndmask_b32_e64 v8, 0, -1, vcc
	v_cmp_eq_u32_e32 vcc, s11, v9
	s_nop 1
	v_cndmask_b32_e32 v8, v13, v8, vcc
	v_cmp_ne_u32_e32 vcc, 0, v8
	v_cndmask_b32_e64 v8, v12, v10, s[4:5]
	s_nop 0
	v_cndmask_b32_e32 v7, v7, v11, vcc
	v_cndmask_b32_e32 v6, v6, v8, vcc
                                        ; implicit-def: $vgpr8
.LBB24_3:
	s_or_saveexec_b64 s[4:5], s[12:13]
	s_load_dwordx2 s[16:17], s[0:1], 0x0
	s_xor_b64 exec, exec, s[4:5]
	s_cbranch_execz .LBB24_5
; %bb.4:
	v_cvt_f32_u32_e32 v6, s10
	s_sub_i32 s12, 0, s10
	v_rcp_iflag_f32_e32 v6, v6
	s_nop 0
	v_mul_f32_e32 v6, 0x4f7ffffe, v6
	v_cvt_u32_f32_e32 v6, v6
	v_mul_lo_u32 v7, s12, v6
	v_mul_hi_u32 v7, v6, v7
	v_add_u32_e32 v6, v6, v7
	v_mul_hi_u32 v6, v8, v6
	v_mul_lo_u32 v7, v6, s10
	v_sub_u32_e32 v7, v8, v7
	v_add_u32_e32 v9, 1, v6
	v_subrev_u32_e32 v8, s10, v7
	v_cmp_le_u32_e32 vcc, s10, v7
	s_nop 1
	v_cndmask_b32_e32 v7, v7, v8, vcc
	v_cndmask_b32_e32 v6, v6, v9, vcc
	v_add_u32_e32 v8, 1, v6
	v_cmp_le_u32_e32 vcc, s10, v7
	v_mov_b32_e32 v7, 0
	s_nop 0
	v_cndmask_b32_e32 v6, v6, v8, vcc
.LBB24_5:
	s_or_b64 exec, exec, s[4:5]
	s_load_dwordx4 s[12:15], s[0:1], 0x10
	s_load_dwordx2 s[18:19], s[0:1], 0x8
	v_lshl_add_u64 v[4:5], v[6:7], 0, v[4:5]
	v_lshl_add_u64 v[20:21], v[4:5], 0, 1
	s_mov_b64 s[0:1], 0
	s_waitcnt lgkmcnt(0)
	s_lshl_b64 s[4:5], s[12:13], 1
	s_add_u32 s20, s4, -2
	s_addc_u32 s21, s5, -1
	v_cmp_lt_i64_e64 s[26:27], s[20:21], 1
	v_cmp_gt_i64_e64 s[22:23], s[20:21], 0
	v_cmp_lt_u64_e32 vcc, 3, v[20:21]
                                        ; implicit-def: $vgpr4_vgpr5
	s_and_saveexec_b64 s[4:5], vcc
	s_xor_b64 s[24:25], exec, s[4:5]
	s_cbranch_execnz .LBB24_8
; %bb.6:
	s_andn2_saveexec_b64 s[2:3], s[24:25]
	s_cbranch_execnz .LBB24_51
.LBB24_7:
	s_or_b64 exec, exec, s[2:3]
	s_and_b64 exec, exec, s[0:1]
	s_cbranch_execnz .LBB24_52
	s_branch .LBB24_64
.LBB24_8:
	s_mul_hi_u32 s0, s28, s3
	s_add_i32 s67, s0, s29
	s_mul_i32 s66, s28, s3
	s_xor_b64 s[28:29], s[26:27], -1
	s_lshl_b64 s[42:43], s[10:11], 2
	v_mad_u64_u32 v[8:9], s[0:1], s10, 3, v[2:3]
	s_sub_u32 s40, 0, s8
	s_mul_i32 s5, s3, s2
	v_mov_b32_e32 v10, v9
	s_subb_u32 s41, 0, s9
	s_mul_hi_u32 s4, s3, s2
	v_mad_u64_u32 v[6:7], s[0:1], s10, 2, v[2:3]
	v_mad_u64_u32 v[4:5], s[0:1], s10, 1, v[2:3]
	v_mad_u64_u32 v[10:11], s[0:1], s11, 3, v[10:11]
	s_sub_u32 s52, s5, s14
	s_subb_u32 s53, s4, s15
	s_mul_i32 s1, s56, 3
	s_mul_hi_u32 s0, s56, 3
	s_add_u32 s1, s1, s2
	s_addc_u32 s0, s0, 0
	s_mul_i32 s0, s0, s3
	s_mul_hi_u32 s54, s1, s3
	s_add_i32 s65, s54, s0
	s_mul_i32 s64, s1, s3
	s_add_u32 s54, s18, s64
	s_addc_u32 s55, s19, s65
	s_lshl_b64 s[0:1], s[56:57], 1
	s_add_u32 s0, s0, s2
	s_addc_u32 s1, s1, 0
	s_mul_i32 s1, s1, s3
	s_mul_hi_u32 s2, s0, s3
	s_add_i32 s2, s2, s1
	s_mul_i32 s0, s0, s3
	s_add_u32 s56, s18, s0
	s_addc_u32 s57, s19, s2
	s_add_u32 s58, s18, s66
	s_addc_u32 s59, s19, s67
	;; [unrolled: 2-line block ×3, first 2 shown]
	s_sub_u32 s62, s0, s14
	s_subb_u32 s63, s2, s15
	s_sub_u32 s64, s64, s14
	v_lshl_add_u32 v7, s11, 1, v7
	v_add_u32_e32 v5, s11, v5
	v_mov_b32_e32 v9, v10
	s_subb_u32 s65, s65, s15
	v_and_b32_e32 v22, -4, v20
	v_mov_b32_e32 v23, v21
	s_sub_u32 s66, s66, s14
	v_mov_b64_e32 v[10:11], v[8:9]
	s_mov_b32 s33, s20
	s_mov_b32 s72, s21
	;; [unrolled: 1-line block ×20, first 2 shown]
	s_mov_b64 s[50:51], 0
	s_subb_u32 s67, s67, s15
	v_mov_b32_e32 v24, 0
	v_mov_b64_e32 v[26:27], v[22:23]
	v_mov_b64_e32 v[8:9], v[6:7]
	;; [unrolled: 1-line block ×4, first 2 shown]
	s_branch .LBB24_11
.LBB24_9:                               ;   in Loop: Header=BB24_11 Depth=1
	s_or_b64 exec, exec, s[0:1]
.LBB24_10:                              ;   in Loop: Header=BB24_11 Depth=1
	v_ashrrev_i32_e32 v25, 31, v19
	v_and_b32_e32 v37, s76, v25
	v_and_b32_e32 v36, s75, v25
	v_ashrrev_i32_e32 v25, 31, v17
	v_and_b32_e32 v39, s74, v25
	v_and_b32_e32 v38, s73, v25
	;; [unrolled: 3-line block ×3, first 2 shown]
	v_ashrrev_i32_e32 v25, 31, v13
	v_lshl_add_u64 v[18:19], v[36:37], 0, v[18:19]
	v_and_b32_e32 v43, s21, v25
	v_and_b32_e32 v42, s20, v25
	v_mov_b32_e32 v25, s76
	v_sub_co_u32_e32 v36, vcc, s75, v18
	v_lshl_add_u64 v[16:17], v[38:39], 0, v[16:17]
	s_nop 0
	v_subb_co_u32_e32 v25, vcc, v25, v19, vcc
	v_mov_b32_e32 v37, s74
	v_sub_co_u32_e32 v38, vcc, s73, v16
	v_lshl_add_u64 v[14:15], v[40:41], 0, v[14:15]
	s_nop 0
	v_subb_co_u32_e32 v37, vcc, v37, v17, vcc
	;; [unrolled: 5-line block ×3, first 2 shown]
	v_mov_b32_e32 v41, s21
	v_sub_co_u32_e32 v42, vcc, s20, v12
	s_add_u32 s52, s52, s42
	s_nop 0
	v_subb_co_u32_e32 v41, vcc, v41, v13, vcc
	v_cmp_gt_i64_e32 vcc, s[30:31], v[12:13]
	s_addc_u32 s53, s53, s43
	v_lshl_add_u64 v[26:27], v[26:27], 0, -4
	v_cndmask_b32_e32 v42, v42, v12, vcc
	v_cndmask_b32_e32 v41, v41, v13, vcc
	v_cmp_gt_i64_e32 vcc, s[34:35], v[14:15]
	v_lshl_add_u64 v[10:11], v[10:11], 0, s[48:49]
	v_lshl_add_u64 v[8:9], v[8:9], 0, s[46:47]
	v_cndmask_b32_e32 v40, v40, v14, vcc
	v_cndmask_b32_e32 v39, v39, v15, vcc
	v_cmp_gt_i64_e32 vcc, s[36:37], v[16:17]
	v_lshl_add_u64 v[6:7], v[6:7], 0, s[44:45]
	v_lshl_add_u64 v[4:5], v[4:5], 0, s[42:43]
	v_cndmask_b32_e32 v14, v38, v16, vcc
	v_cndmask_b32_e32 v15, v37, v17, vcc
	v_cmp_gt_i64_e32 vcc, s[38:39], v[18:19]
	v_cndmask_b32_e64 v17, v39, 0, s[26:27]
	v_cndmask_b32_e64 v15, v15, 0, s[26:27]
	v_cndmask_b32_e32 v12, v36, v18, vcc
	v_mov_b64_e32 v[36:37], s[16:17]
	v_cndmask_b32_e32 v13, v25, v19, vcc
	v_mad_u64_u32 v[38:39], s[0:1], v28, s30, v[36:37]
	v_mul_lo_u32 v25, v28, s31
	v_mul_lo_u32 v28, v29, s30
	v_add3_u32 v39, v28, v39, v25
	v_mad_u64_u32 v[28:29], s[0:1], v30, s34, v[36:37]
	v_mul_lo_u32 v25, v30, s35
	v_mul_lo_u32 v30, v31, s34
	v_add3_u32 v29, v30, v29, v25
	v_mad_u64_u32 v[30:31], s[0:1], v32, s36, v[36:37]
	v_mul_lo_u32 v25, v32, s37
	v_mul_lo_u32 v32, v33, s36
	v_cndmask_b32_e64 v19, v41, 0, s[26:27]
	v_cndmask_b32_e64 v18, v42, 0, s[26:27]
	v_add3_u32 v31, v32, v31, v25
	v_mad_u64_u32 v[32:33], s[0:1], v34, s38, v[36:37]
	v_mul_lo_u32 v25, v34, s39
	v_mul_lo_u32 v34, v35, s38
	v_cndmask_b32_e64 v13, v13, 0, s[26:27]
	v_cndmask_b32_e64 v12, v12, 0, s[26:27]
	;; [unrolled: 1-line block ×4, first 2 shown]
	v_add3_u32 v33, v34, v33, v25
	v_lshl_add_u64 v[18:19], v[38:39], 0, v[18:19]
	v_lshl_add_u64 v[16:17], v[28:29], 0, v[16:17]
	;; [unrolled: 1-line block ×4, first 2 shown]
	global_load_ubyte v25, v[18:19], off
	global_load_ubyte v28, v[16:17], off
	global_load_ubyte v29, v[14:15], off
	global_load_ubyte v30, v[12:13], off
	v_lshl_add_u64 v[18:19], s[54:55], 0, v[0:1]
	s_add_u32 s54, s54, s42
	s_addc_u32 s55, s55, s43
	v_lshl_add_u64 v[16:17], s[56:57], 0, v[0:1]
	s_add_u32 s56, s56, s42
	s_addc_u32 s57, s57, s43
	;; [unrolled: 3-line block ×4, first 2 shown]
	s_add_u32 s62, s62, s42
	s_addc_u32 s63, s63, s43
	s_add_u32 s64, s64, s42
	s_addc_u32 s65, s65, s43
	;; [unrolled: 2-line block ×3, first 2 shown]
	v_cmp_eq_u64_e32 vcc, 0, v[26:27]
	s_or_b64 s[50:51], vcc, s[50:51]
	s_waitcnt vmcnt(3)
	global_store_byte v[12:13], v25, off
	s_waitcnt vmcnt(3)
	global_store_byte v[14:15], v28, off
	;; [unrolled: 2-line block ×4, first 2 shown]
	s_andn2_b64 exec, exec, s[50:51]
	s_cbranch_execz .LBB24_50
.LBB24_11:                              ; =>This Inner Loop Header: Depth=1
	v_or_b32_e32 v25, s9, v5
	v_cmp_ne_u64_e32 vcc, 0, v[24:25]
                                        ; implicit-def: $vgpr28_vgpr29
	s_and_saveexec_b64 s[0:1], vcc
	s_xor_b64 s[2:3], exec, s[0:1]
	s_cbranch_execz .LBB24_13
; %bb.12:                               ;   in Loop: Header=BB24_11 Depth=1
	s_ashr_i32 s4, s9, 31
	s_add_u32 s0, s8, s4
	s_mov_b32 s5, s4
	s_addc_u32 s1, s9, s4
	s_xor_b64 s[68:69], s[0:1], s[4:5]
	v_cvt_f32_u32_e32 v12, s68
	v_cvt_f32_u32_e32 v13, s69
	s_sub_u32 s5, 0, s68
	s_subb_u32 s70, 0, s69
	v_mov_b32_e32 v17, v24
	v_fmac_f32_e32 v12, 0x4f800000, v13
	v_rcp_f32_e32 v12, v12
	s_nop 0
	v_mul_f32_e32 v12, 0x5f7ffffc, v12
	v_mul_f32_e32 v13, 0x2f800000, v12
	v_trunc_f32_e32 v13, v13
	v_fmac_f32_e32 v12, 0xcf800000, v13
	v_cvt_u32_f32_e32 v13, v13
	v_cvt_u32_f32_e32 v12, v12
	v_readfirstlane_b32 s71, v13
	v_readfirstlane_b32 s0, v12
	s_mul_i32 s1, s5, s71
	s_mul_hi_u32 s78, s5, s0
	s_mul_i32 s77, s70, s0
	s_add_i32 s1, s78, s1
	s_add_i32 s1, s1, s77
	s_mul_i32 s79, s5, s0
	s_mul_i32 s78, s0, s1
	s_mul_hi_u32 s80, s0, s79
	s_mul_hi_u32 s77, s0, s1
	s_add_u32 s78, s80, s78
	s_addc_u32 s77, 0, s77
	s_mul_hi_u32 s81, s71, s79
	s_mul_i32 s79, s71, s79
	s_add_u32 s78, s78, s79
	s_mul_hi_u32 s80, s71, s1
	s_addc_u32 s77, s77, s81
	s_addc_u32 s78, s80, 0
	s_mul_i32 s1, s71, s1
	s_add_u32 s1, s77, s1
	s_addc_u32 s77, 0, s78
	s_add_u32 s78, s0, s1
	s_cselect_b64 s[0:1], -1, 0
	s_cmp_lg_u64 s[0:1], 0
	s_addc_u32 s71, s71, s77
	s_mul_i32 s0, s5, s71
	s_mul_hi_u32 s1, s5, s78
	s_add_i32 s0, s1, s0
	s_mul_i32 s70, s70, s78
	s_add_i32 s0, s0, s70
	s_mul_i32 s5, s5, s78
	s_mul_hi_u32 s70, s71, s5
	s_mul_i32 s77, s71, s5
	s_mul_i32 s80, s78, s0
	s_mul_hi_u32 s5, s78, s5
	s_mul_hi_u32 s79, s78, s0
	s_add_u32 s5, s5, s80
	s_addc_u32 s79, 0, s79
	s_add_u32 s5, s5, s77
	s_mul_hi_u32 s1, s71, s0
	s_addc_u32 s5, s79, s70
	s_addc_u32 s1, s1, 0
	s_mul_i32 s0, s71, s0
	s_add_u32 s0, s5, s0
	s_addc_u32 s5, 0, s1
	s_add_u32 s70, s78, s0
	v_ashrrev_i32_e32 v12, 31, v5
	s_cselect_b64 s[0:1], -1, 0
	v_mov_b32_e32 v13, v12
	s_cmp_lg_u64 s[0:1], 0
	v_lshl_add_u64 v[14:15], v[4:5], 0, v[12:13]
	s_addc_u32 s5, s71, s5
	v_xor_b32_e32 v25, v14, v12
	v_xor_b32_e32 v13, v15, v12
	v_mad_u64_u32 v[14:15], s[0:1], v25, s5, 0
	v_mul_hi_u32 v16, v25, s70
	v_lshl_add_u64 v[14:15], v[16:17], 0, v[14:15]
	v_mad_u64_u32 v[18:19], s[0:1], v13, s70, 0
	v_add_co_u32_e32 v14, vcc, v14, v18
	v_mad_u64_u32 v[16:17], s[0:1], v13, s5, 0
	s_nop 0
	v_addc_co_u32_e32 v14, vcc, v15, v19, vcc
	v_mov_b32_e32 v15, v24
	s_nop 0
	v_addc_co_u32_e32 v17, vcc, 0, v17, vcc
	v_lshl_add_u64 v[14:15], v[14:15], 0, v[16:17]
	v_mul_lo_u32 v18, s69, v14
	v_mul_lo_u32 v19, s68, v15
	v_mad_u64_u32 v[16:17], s[0:1], s68, v14, 0
	v_add3_u32 v28, v17, v19, v18
	v_sub_u32_e32 v17, v13, v28
	v_mov_b32_e32 v18, s69
	v_sub_co_u32_e32 v25, vcc, v25, v16
	v_xor_b32_e32 v12, s4, v12
	s_nop 0
	v_subb_co_u32_e64 v16, s[0:1], v17, v18, vcc
	v_subrev_co_u32_e64 v17, s[0:1], s68, v25
	v_subb_co_u32_e32 v13, vcc, v13, v28, vcc
	s_nop 0
	v_subbrev_co_u32_e64 v16, s[0:1], 0, v16, s[0:1]
	v_cmp_le_u32_e64 s[0:1], s69, v16
	v_cmp_le_u32_e32 vcc, s69, v13
	s_nop 0
	v_cndmask_b32_e64 v18, 0, -1, s[0:1]
	v_cmp_le_u32_e64 s[0:1], s68, v17
	s_nop 1
	v_cndmask_b32_e64 v17, 0, -1, s[0:1]
	v_cmp_eq_u32_e64 s[0:1], s69, v16
	s_nop 1
	v_cndmask_b32_e64 v29, v18, v17, s[0:1]
	v_lshl_add_u64 v[16:17], v[14:15], 0, 2
	v_lshl_add_u64 v[18:19], v[14:15], 0, 1
	v_cmp_ne_u32_e64 s[0:1], 0, v29
	s_nop 1
	v_cndmask_b32_e64 v17, v19, v17, s[0:1]
	v_cndmask_b32_e64 v19, 0, -1, vcc
	v_cmp_le_u32_e32 vcc, s68, v25
	s_nop 1
	v_cndmask_b32_e64 v25, 0, -1, vcc
	v_cmp_eq_u32_e32 vcc, s69, v13
	s_nop 1
	v_cndmask_b32_e32 v13, v19, v25, vcc
	v_cmp_ne_u32_e32 vcc, 0, v13
	s_nop 1
	v_cndmask_b32_e32 v13, v15, v17, vcc
	v_cndmask_b32_e64 v15, v18, v16, s[0:1]
	v_cndmask_b32_e32 v14, v14, v15, vcc
	v_xor_b32_e32 v14, v14, v12
	v_xor_b32_e32 v13, v13, v12
	v_sub_co_u32_e32 v28, vcc, v14, v12
	s_nop 1
	v_subb_co_u32_e32 v29, vcc, v13, v12, vcc
.LBB24_13:                              ;   in Loop: Header=BB24_11 Depth=1
	s_or_saveexec_b64 s[0:1], s[2:3]
	v_cvt_f32_u32_e32 v12, s8
	v_rcp_iflag_f32_e32 v12, v12
	s_xor_b64 exec, exec, s[0:1]
	s_cbranch_execz .LBB24_15
; %bb.14:                               ;   in Loop: Header=BB24_11 Depth=1
	v_mul_f32_e32 v13, 0x4f7ffffe, v12
	v_cvt_u32_f32_e32 v13, v13
	s_sub_i32 s2, 0, s8
	v_mov_b32_e32 v29, v24
	v_mul_lo_u32 v14, s2, v13
	v_mul_hi_u32 v14, v13, v14
	v_add_u32_e32 v13, v13, v14
	v_mul_hi_u32 v13, v4, v13
	v_mul_lo_u32 v14, v13, s8
	v_sub_u32_e32 v14, v4, v14
	v_add_u32_e32 v15, 1, v13
	v_subrev_u32_e32 v16, s8, v14
	v_cmp_le_u32_e32 vcc, s8, v14
	s_nop 1
	v_cndmask_b32_e32 v14, v14, v16, vcc
	v_cndmask_b32_e32 v13, v13, v15, vcc
	v_add_u32_e32 v15, 1, v13
	v_cmp_le_u32_e32 vcc, s8, v14
	s_nop 1
	v_cndmask_b32_e32 v28, v13, v15, vcc
.LBB24_15:                              ;   in Loop: Header=BB24_11 Depth=1
	s_or_b64 exec, exec, s[0:1]
	v_or_b32_e32 v25, s9, v7
	v_cmp_ne_u64_e32 vcc, 0, v[24:25]
                                        ; implicit-def: $vgpr30_vgpr31
	s_and_saveexec_b64 s[0:1], vcc
	s_xor_b64 s[2:3], exec, s[0:1]
	s_cbranch_execz .LBB24_17
; %bb.16:                               ;   in Loop: Header=BB24_11 Depth=1
	s_ashr_i32 s4, s9, 31
	s_add_u32 s0, s8, s4
	s_mov_b32 s5, s4
	s_addc_u32 s1, s9, s4
	s_xor_b64 s[68:69], s[0:1], s[4:5]
	v_cvt_f32_u32_e32 v13, s68
	v_cvt_f32_u32_e32 v14, s69
	s_sub_u32 s5, 0, s68
	s_subb_u32 s70, 0, s69
	v_mov_b32_e32 v19, v24
	v_fmac_f32_e32 v13, 0x4f800000, v14
	v_rcp_f32_e32 v13, v13
	s_nop 0
	v_mul_f32_e32 v13, 0x5f7ffffc, v13
	v_mul_f32_e32 v14, 0x2f800000, v13
	v_trunc_f32_e32 v14, v14
	v_fmac_f32_e32 v13, 0xcf800000, v14
	v_cvt_u32_f32_e32 v14, v14
	v_cvt_u32_f32_e32 v13, v13
	v_readfirstlane_b32 s71, v14
	v_readfirstlane_b32 s0, v13
	s_mul_i32 s1, s5, s71
	s_mul_hi_u32 s78, s5, s0
	s_mul_i32 s77, s70, s0
	s_add_i32 s1, s78, s1
	s_add_i32 s1, s1, s77
	s_mul_i32 s79, s5, s0
	s_mul_i32 s78, s0, s1
	s_mul_hi_u32 s80, s0, s79
	s_mul_hi_u32 s77, s0, s1
	s_add_u32 s78, s80, s78
	s_addc_u32 s77, 0, s77
	s_mul_hi_u32 s81, s71, s79
	s_mul_i32 s79, s71, s79
	s_add_u32 s78, s78, s79
	s_mul_hi_u32 s80, s71, s1
	s_addc_u32 s77, s77, s81
	s_addc_u32 s78, s80, 0
	s_mul_i32 s1, s71, s1
	s_add_u32 s1, s77, s1
	s_addc_u32 s77, 0, s78
	s_add_u32 s78, s0, s1
	s_cselect_b64 s[0:1], -1, 0
	s_cmp_lg_u64 s[0:1], 0
	s_addc_u32 s71, s71, s77
	s_mul_i32 s0, s5, s71
	s_mul_hi_u32 s1, s5, s78
	s_add_i32 s0, s1, s0
	s_mul_i32 s70, s70, s78
	s_add_i32 s0, s0, s70
	s_mul_i32 s5, s5, s78
	s_mul_hi_u32 s70, s71, s5
	s_mul_i32 s77, s71, s5
	s_mul_i32 s80, s78, s0
	s_mul_hi_u32 s5, s78, s5
	s_mul_hi_u32 s79, s78, s0
	s_add_u32 s5, s5, s80
	s_addc_u32 s79, 0, s79
	s_add_u32 s5, s5, s77
	s_mul_hi_u32 s1, s71, s0
	s_addc_u32 s5, s79, s70
	s_addc_u32 s1, s1, 0
	s_mul_i32 s0, s71, s0
	s_add_u32 s0, s5, s0
	s_addc_u32 s5, 0, s1
	s_add_u32 s70, s78, s0
	v_ashrrev_i32_e32 v14, 31, v7
	s_cselect_b64 s[0:1], -1, 0
	v_mov_b32_e32 v15, v14
	s_cmp_lg_u64 s[0:1], 0
	v_lshl_add_u64 v[16:17], v[6:7], 0, v[14:15]
	s_addc_u32 s5, s71, s5
	v_xor_b32_e32 v15, v16, v14
	v_xor_b32_e32 v13, v17, v14
	v_mad_u64_u32 v[16:17], s[0:1], v15, s5, 0
	v_mul_hi_u32 v18, v15, s70
	v_lshl_add_u64 v[16:17], v[18:19], 0, v[16:17]
	v_mad_u64_u32 v[30:31], s[0:1], v13, s70, 0
	v_add_co_u32_e32 v16, vcc, v16, v30
	v_mad_u64_u32 v[18:19], s[0:1], v13, s5, 0
	s_nop 0
	v_addc_co_u32_e32 v16, vcc, v17, v31, vcc
	v_mov_b32_e32 v17, v24
	s_nop 0
	v_addc_co_u32_e32 v19, vcc, 0, v19, vcc
	v_lshl_add_u64 v[16:17], v[16:17], 0, v[18:19]
	v_mul_lo_u32 v25, s69, v16
	v_mul_lo_u32 v30, s68, v17
	v_mad_u64_u32 v[18:19], s[0:1], s68, v16, 0
	v_add3_u32 v25, v19, v30, v25
	v_sub_u32_e32 v19, v13, v25
	v_mov_b32_e32 v30, s69
	v_sub_co_u32_e32 v15, vcc, v15, v18
	v_xor_b32_e32 v14, s4, v14
	s_nop 0
	v_subb_co_u32_e64 v18, s[0:1], v19, v30, vcc
	v_subrev_co_u32_e64 v19, s[0:1], s68, v15
	v_subb_co_u32_e32 v13, vcc, v13, v25, vcc
	s_nop 0
	v_subbrev_co_u32_e64 v18, s[0:1], 0, v18, s[0:1]
	v_cmp_le_u32_e64 s[0:1], s69, v18
	v_cmp_le_u32_e32 vcc, s69, v13
	s_nop 0
	v_cndmask_b32_e64 v30, 0, -1, s[0:1]
	v_cmp_le_u32_e64 s[0:1], s68, v19
	v_cndmask_b32_e64 v25, 0, -1, vcc
	v_cmp_le_u32_e32 vcc, s68, v15
	v_cndmask_b32_e64 v19, 0, -1, s[0:1]
	v_cmp_eq_u32_e64 s[0:1], s69, v18
	v_cndmask_b32_e64 v15, 0, -1, vcc
	v_cmp_eq_u32_e32 vcc, s69, v13
	v_cndmask_b32_e64 v32, v30, v19, s[0:1]
	v_lshl_add_u64 v[18:19], v[16:17], 0, 2
	v_lshl_add_u64 v[30:31], v[16:17], 0, 1
	v_cmp_ne_u32_e64 s[0:1], 0, v32
	v_cndmask_b32_e32 v13, v25, v15, vcc
	v_cmp_ne_u32_e32 vcc, 0, v13
	v_cndmask_b32_e64 v15, v30, v18, s[0:1]
	v_cndmask_b32_e64 v19, v31, v19, s[0:1]
	v_cndmask_b32_e32 v15, v16, v15, vcc
	v_cndmask_b32_e32 v13, v17, v19, vcc
	v_xor_b32_e32 v15, v15, v14
	v_xor_b32_e32 v13, v13, v14
	v_sub_co_u32_e32 v30, vcc, v15, v14
	s_nop 1
	v_subb_co_u32_e32 v31, vcc, v13, v14, vcc
.LBB24_17:                              ;   in Loop: Header=BB24_11 Depth=1
	s_andn2_saveexec_b64 s[0:1], s[2:3]
	s_cbranch_execz .LBB24_19
; %bb.18:                               ;   in Loop: Header=BB24_11 Depth=1
	v_mul_f32_e32 v13, 0x4f7ffffe, v12
	v_cvt_u32_f32_e32 v13, v13
	s_sub_i32 s2, 0, s8
	v_mov_b32_e32 v31, v24
	v_mul_lo_u32 v14, s2, v13
	v_mul_hi_u32 v14, v13, v14
	v_add_u32_e32 v13, v13, v14
	v_mul_hi_u32 v13, v6, v13
	v_mul_lo_u32 v14, v13, s8
	v_sub_u32_e32 v14, v6, v14
	v_add_u32_e32 v15, 1, v13
	v_subrev_u32_e32 v16, s8, v14
	v_cmp_le_u32_e32 vcc, s8, v14
	s_nop 1
	v_cndmask_b32_e32 v14, v14, v16, vcc
	v_cndmask_b32_e32 v13, v13, v15, vcc
	v_add_u32_e32 v15, 1, v13
	v_cmp_le_u32_e32 vcc, s8, v14
	s_nop 1
	v_cndmask_b32_e32 v30, v13, v15, vcc
.LBB24_19:                              ;   in Loop: Header=BB24_11 Depth=1
	s_or_b64 exec, exec, s[0:1]
	v_or_b32_e32 v25, s9, v9
	v_cmp_ne_u64_e32 vcc, 0, v[24:25]
                                        ; implicit-def: $vgpr32_vgpr33
	s_and_saveexec_b64 s[0:1], vcc
	s_xor_b64 s[2:3], exec, s[0:1]
	s_cbranch_execz .LBB24_21
; %bb.20:                               ;   in Loop: Header=BB24_11 Depth=1
	s_ashr_i32 s4, s9, 31
	s_add_u32 s0, s8, s4
	s_mov_b32 s5, s4
	s_addc_u32 s1, s9, s4
	s_xor_b64 s[68:69], s[0:1], s[4:5]
	v_cvt_f32_u32_e32 v13, s68
	v_cvt_f32_u32_e32 v14, s69
	s_sub_u32 s5, 0, s68
	s_subb_u32 s70, 0, s69
	v_mov_b32_e32 v19, v24
	v_fmac_f32_e32 v13, 0x4f800000, v14
	v_rcp_f32_e32 v13, v13
	s_nop 0
	v_mul_f32_e32 v13, 0x5f7ffffc, v13
	v_mul_f32_e32 v14, 0x2f800000, v13
	v_trunc_f32_e32 v14, v14
	v_fmac_f32_e32 v13, 0xcf800000, v14
	v_cvt_u32_f32_e32 v14, v14
	v_cvt_u32_f32_e32 v13, v13
	v_readfirstlane_b32 s71, v14
	v_readfirstlane_b32 s0, v13
	s_mul_i32 s1, s5, s71
	s_mul_hi_u32 s78, s5, s0
	s_mul_i32 s77, s70, s0
	s_add_i32 s1, s78, s1
	s_add_i32 s1, s1, s77
	s_mul_i32 s79, s5, s0
	s_mul_i32 s78, s0, s1
	s_mul_hi_u32 s80, s0, s79
	s_mul_hi_u32 s77, s0, s1
	s_add_u32 s78, s80, s78
	s_addc_u32 s77, 0, s77
	s_mul_hi_u32 s81, s71, s79
	s_mul_i32 s79, s71, s79
	s_add_u32 s78, s78, s79
	s_mul_hi_u32 s80, s71, s1
	s_addc_u32 s77, s77, s81
	s_addc_u32 s78, s80, 0
	s_mul_i32 s1, s71, s1
	s_add_u32 s1, s77, s1
	s_addc_u32 s77, 0, s78
	s_add_u32 s78, s0, s1
	s_cselect_b64 s[0:1], -1, 0
	s_cmp_lg_u64 s[0:1], 0
	s_addc_u32 s71, s71, s77
	s_mul_i32 s0, s5, s71
	s_mul_hi_u32 s1, s5, s78
	s_add_i32 s0, s1, s0
	s_mul_i32 s70, s70, s78
	s_add_i32 s0, s0, s70
	s_mul_i32 s5, s5, s78
	s_mul_hi_u32 s70, s71, s5
	s_mul_i32 s77, s71, s5
	s_mul_i32 s80, s78, s0
	s_mul_hi_u32 s5, s78, s5
	s_mul_hi_u32 s79, s78, s0
	s_add_u32 s5, s5, s80
	s_addc_u32 s79, 0, s79
	s_add_u32 s5, s5, s77
	s_mul_hi_u32 s1, s71, s0
	s_addc_u32 s5, s79, s70
	s_addc_u32 s1, s1, 0
	s_mul_i32 s0, s71, s0
	s_add_u32 s0, s5, s0
	s_addc_u32 s5, 0, s1
	s_add_u32 s70, s78, s0
	v_ashrrev_i32_e32 v14, 31, v9
	s_cselect_b64 s[0:1], -1, 0
	v_mov_b32_e32 v15, v14
	s_cmp_lg_u64 s[0:1], 0
	v_lshl_add_u64 v[16:17], v[8:9], 0, v[14:15]
	s_addc_u32 s5, s71, s5
	v_xor_b32_e32 v15, v16, v14
	v_xor_b32_e32 v13, v17, v14
	v_mad_u64_u32 v[16:17], s[0:1], v15, s5, 0
	v_mul_hi_u32 v18, v15, s70
	v_lshl_add_u64 v[16:17], v[18:19], 0, v[16:17]
	v_mad_u64_u32 v[32:33], s[0:1], v13, s70, 0
	v_add_co_u32_e32 v16, vcc, v16, v32
	v_mad_u64_u32 v[18:19], s[0:1], v13, s5, 0
	s_nop 0
	v_addc_co_u32_e32 v16, vcc, v17, v33, vcc
	v_mov_b32_e32 v17, v24
	s_nop 0
	v_addc_co_u32_e32 v19, vcc, 0, v19, vcc
	v_lshl_add_u64 v[16:17], v[16:17], 0, v[18:19]
	v_mul_lo_u32 v25, s69, v16
	v_mul_lo_u32 v32, s68, v17
	v_mad_u64_u32 v[18:19], s[0:1], s68, v16, 0
	v_add3_u32 v25, v19, v32, v25
	v_sub_u32_e32 v19, v13, v25
	v_mov_b32_e32 v32, s69
	v_sub_co_u32_e32 v15, vcc, v15, v18
	v_xor_b32_e32 v14, s4, v14
	s_nop 0
	v_subb_co_u32_e64 v18, s[0:1], v19, v32, vcc
	v_subrev_co_u32_e64 v19, s[0:1], s68, v15
	v_subb_co_u32_e32 v13, vcc, v13, v25, vcc
	s_nop 0
	v_subbrev_co_u32_e64 v18, s[0:1], 0, v18, s[0:1]
	v_cmp_le_u32_e64 s[0:1], s69, v18
	v_cmp_le_u32_e32 vcc, s69, v13
	s_nop 0
	v_cndmask_b32_e64 v32, 0, -1, s[0:1]
	v_cmp_le_u32_e64 s[0:1], s68, v19
	v_cndmask_b32_e64 v25, 0, -1, vcc
	v_cmp_le_u32_e32 vcc, s68, v15
	v_cndmask_b32_e64 v19, 0, -1, s[0:1]
	v_cmp_eq_u32_e64 s[0:1], s69, v18
	v_cndmask_b32_e64 v15, 0, -1, vcc
	v_cmp_eq_u32_e32 vcc, s69, v13
	v_cndmask_b32_e64 v34, v32, v19, s[0:1]
	v_lshl_add_u64 v[18:19], v[16:17], 0, 2
	v_lshl_add_u64 v[32:33], v[16:17], 0, 1
	v_cmp_ne_u32_e64 s[0:1], 0, v34
	v_cndmask_b32_e32 v13, v25, v15, vcc
	v_cmp_ne_u32_e32 vcc, 0, v13
	v_cndmask_b32_e64 v15, v32, v18, s[0:1]
	v_cndmask_b32_e64 v19, v33, v19, s[0:1]
	v_cndmask_b32_e32 v15, v16, v15, vcc
	v_cndmask_b32_e32 v13, v17, v19, vcc
	v_xor_b32_e32 v15, v15, v14
	v_xor_b32_e32 v13, v13, v14
	v_sub_co_u32_e32 v32, vcc, v15, v14
	s_nop 1
	v_subb_co_u32_e32 v33, vcc, v13, v14, vcc
.LBB24_21:                              ;   in Loop: Header=BB24_11 Depth=1
	s_andn2_saveexec_b64 s[0:1], s[2:3]
	s_cbranch_execz .LBB24_23
; %bb.22:                               ;   in Loop: Header=BB24_11 Depth=1
	v_mul_f32_e32 v13, 0x4f7ffffe, v12
	v_cvt_u32_f32_e32 v13, v13
	s_sub_i32 s2, 0, s8
	v_mov_b32_e32 v33, v24
	v_mul_lo_u32 v14, s2, v13
	v_mul_hi_u32 v14, v13, v14
	v_add_u32_e32 v13, v13, v14
	v_mul_hi_u32 v13, v8, v13
	v_mul_lo_u32 v14, v13, s8
	v_sub_u32_e32 v14, v8, v14
	v_add_u32_e32 v15, 1, v13
	v_subrev_u32_e32 v16, s8, v14
	v_cmp_le_u32_e32 vcc, s8, v14
	s_nop 1
	v_cndmask_b32_e32 v14, v14, v16, vcc
	v_cndmask_b32_e32 v13, v13, v15, vcc
	v_add_u32_e32 v15, 1, v13
	v_cmp_le_u32_e32 vcc, s8, v14
	s_nop 1
	v_cndmask_b32_e32 v32, v13, v15, vcc
.LBB24_23:                              ;   in Loop: Header=BB24_11 Depth=1
	s_or_b64 exec, exec, s[0:1]
	v_or_b32_e32 v25, s9, v11
	v_cmp_ne_u64_e32 vcc, 0, v[24:25]
                                        ; implicit-def: $vgpr34_vgpr35
	s_and_saveexec_b64 s[0:1], vcc
	s_xor_b64 s[2:3], exec, s[0:1]
	s_cbranch_execz .LBB24_25
; %bb.24:                               ;   in Loop: Header=BB24_11 Depth=1
	s_ashr_i32 s4, s9, 31
	s_add_u32 s0, s8, s4
	s_mov_b32 s5, s4
	s_addc_u32 s1, s9, s4
	s_xor_b64 s[68:69], s[0:1], s[4:5]
	v_cvt_f32_u32_e32 v12, s68
	v_cvt_f32_u32_e32 v13, s69
	s_sub_u32 s5, 0, s68
	s_subb_u32 s70, 0, s69
	v_mov_b32_e32 v17, v24
	v_fmac_f32_e32 v12, 0x4f800000, v13
	v_rcp_f32_e32 v12, v12
	s_nop 0
	v_mul_f32_e32 v12, 0x5f7ffffc, v12
	v_mul_f32_e32 v13, 0x2f800000, v12
	v_trunc_f32_e32 v13, v13
	v_fmac_f32_e32 v12, 0xcf800000, v13
	v_cvt_u32_f32_e32 v13, v13
	v_cvt_u32_f32_e32 v12, v12
	v_readfirstlane_b32 s71, v13
	v_readfirstlane_b32 s0, v12
	s_mul_i32 s1, s5, s71
	s_mul_hi_u32 s78, s5, s0
	s_mul_i32 s77, s70, s0
	s_add_i32 s1, s78, s1
	s_add_i32 s1, s1, s77
	s_mul_i32 s79, s5, s0
	s_mul_i32 s78, s0, s1
	s_mul_hi_u32 s80, s0, s79
	s_mul_hi_u32 s77, s0, s1
	s_add_u32 s78, s80, s78
	s_addc_u32 s77, 0, s77
	s_mul_hi_u32 s81, s71, s79
	s_mul_i32 s79, s71, s79
	s_add_u32 s78, s78, s79
	s_mul_hi_u32 s80, s71, s1
	s_addc_u32 s77, s77, s81
	s_addc_u32 s78, s80, 0
	s_mul_i32 s1, s71, s1
	s_add_u32 s1, s77, s1
	s_addc_u32 s77, 0, s78
	s_add_u32 s78, s0, s1
	s_cselect_b64 s[0:1], -1, 0
	s_cmp_lg_u64 s[0:1], 0
	s_addc_u32 s71, s71, s77
	s_mul_i32 s0, s5, s71
	s_mul_hi_u32 s1, s5, s78
	s_add_i32 s0, s1, s0
	s_mul_i32 s70, s70, s78
	s_add_i32 s0, s0, s70
	s_mul_i32 s5, s5, s78
	s_mul_hi_u32 s70, s71, s5
	s_mul_i32 s77, s71, s5
	s_mul_i32 s80, s78, s0
	s_mul_hi_u32 s5, s78, s5
	s_mul_hi_u32 s79, s78, s0
	s_add_u32 s5, s5, s80
	s_addc_u32 s79, 0, s79
	s_add_u32 s5, s5, s77
	s_mul_hi_u32 s1, s71, s0
	s_addc_u32 s5, s79, s70
	s_addc_u32 s1, s1, 0
	s_mul_i32 s0, s71, s0
	s_add_u32 s0, s5, s0
	s_addc_u32 s5, 0, s1
	s_add_u32 s70, s78, s0
	v_ashrrev_i32_e32 v12, 31, v11
	s_cselect_b64 s[0:1], -1, 0
	v_mov_b32_e32 v13, v12
	s_cmp_lg_u64 s[0:1], 0
	v_lshl_add_u64 v[14:15], v[10:11], 0, v[12:13]
	s_addc_u32 s5, s71, s5
	v_xor_b32_e32 v25, v14, v12
	v_xor_b32_e32 v13, v15, v12
	v_mad_u64_u32 v[14:15], s[0:1], v25, s5, 0
	v_mul_hi_u32 v16, v25, s70
	v_lshl_add_u64 v[14:15], v[16:17], 0, v[14:15]
	v_mad_u64_u32 v[18:19], s[0:1], v13, s70, 0
	v_add_co_u32_e32 v14, vcc, v14, v18
	v_mad_u64_u32 v[16:17], s[0:1], v13, s5, 0
	s_nop 0
	v_addc_co_u32_e32 v14, vcc, v15, v19, vcc
	v_mov_b32_e32 v15, v24
	s_nop 0
	v_addc_co_u32_e32 v17, vcc, 0, v17, vcc
	v_lshl_add_u64 v[14:15], v[14:15], 0, v[16:17]
	v_mul_lo_u32 v18, s69, v14
	v_mul_lo_u32 v19, s68, v15
	v_mad_u64_u32 v[16:17], s[0:1], s68, v14, 0
	v_add3_u32 v34, v17, v19, v18
	v_sub_u32_e32 v17, v13, v34
	v_mov_b32_e32 v18, s69
	v_sub_co_u32_e32 v25, vcc, v25, v16
	v_xor_b32_e32 v12, s4, v12
	s_nop 0
	v_subb_co_u32_e64 v16, s[0:1], v17, v18, vcc
	v_subrev_co_u32_e64 v17, s[0:1], s68, v25
	v_subb_co_u32_e32 v13, vcc, v13, v34, vcc
	s_nop 0
	v_subbrev_co_u32_e64 v16, s[0:1], 0, v16, s[0:1]
	v_cmp_le_u32_e64 s[0:1], s69, v16
	v_cmp_le_u32_e32 vcc, s69, v13
	s_nop 0
	v_cndmask_b32_e64 v18, 0, -1, s[0:1]
	v_cmp_le_u32_e64 s[0:1], s68, v17
	s_nop 1
	v_cndmask_b32_e64 v17, 0, -1, s[0:1]
	v_cmp_eq_u32_e64 s[0:1], s69, v16
	s_nop 1
	v_cndmask_b32_e64 v35, v18, v17, s[0:1]
	v_lshl_add_u64 v[16:17], v[14:15], 0, 2
	v_lshl_add_u64 v[18:19], v[14:15], 0, 1
	v_cmp_ne_u32_e64 s[0:1], 0, v35
	s_nop 1
	v_cndmask_b32_e64 v17, v19, v17, s[0:1]
	v_cndmask_b32_e64 v19, 0, -1, vcc
	v_cmp_le_u32_e32 vcc, s68, v25
	s_nop 1
	v_cndmask_b32_e64 v25, 0, -1, vcc
	v_cmp_eq_u32_e32 vcc, s69, v13
	s_nop 1
	v_cndmask_b32_e32 v13, v19, v25, vcc
	v_cmp_ne_u32_e32 vcc, 0, v13
	s_nop 1
	v_cndmask_b32_e32 v13, v15, v17, vcc
	v_cndmask_b32_e64 v15, v18, v16, s[0:1]
	v_cndmask_b32_e32 v14, v14, v15, vcc
	v_xor_b32_e32 v14, v14, v12
	v_xor_b32_e32 v13, v13, v12
	v_sub_co_u32_e32 v34, vcc, v14, v12
	s_nop 1
	v_subb_co_u32_e32 v35, vcc, v13, v12, vcc
                                        ; implicit-def: $vgpr12
.LBB24_25:                              ;   in Loop: Header=BB24_11 Depth=1
	s_andn2_saveexec_b64 s[0:1], s[2:3]
	s_cbranch_execz .LBB24_27
; %bb.26:                               ;   in Loop: Header=BB24_11 Depth=1
	v_mul_f32_e32 v12, 0x4f7ffffe, v12
	v_cvt_u32_f32_e32 v12, v12
	s_sub_i32 s2, 0, s8
	v_mov_b32_e32 v35, v24
	v_mul_lo_u32 v13, s2, v12
	v_mul_hi_u32 v13, v12, v13
	v_add_u32_e32 v12, v12, v13
	v_mul_hi_u32 v12, v10, v12
	v_mul_lo_u32 v13, v12, s8
	v_sub_u32_e32 v13, v10, v13
	v_add_u32_e32 v14, 1, v12
	v_subrev_u32_e32 v15, s8, v13
	v_cmp_le_u32_e32 vcc, s8, v13
	s_nop 1
	v_cndmask_b32_e32 v13, v13, v15, vcc
	v_cndmask_b32_e32 v12, v12, v14, vcc
	v_add_u32_e32 v14, 1, v12
	v_cmp_le_u32_e32 vcc, s8, v13
	s_nop 1
	v_cndmask_b32_e32 v34, v12, v14, vcc
.LBB24_27:                              ;   in Loop: Header=BB24_11 Depth=1
	s_or_b64 exec, exec, s[0:1]
	v_cndmask_b32_e64 v12, 0, 1, s[28:29]
	v_cmp_ne_u32_e64 s[0:1], 1, v12
	s_andn2_b64 vcc, exec, s[28:29]
                                        ; implicit-def: $vgpr12_vgpr13_vgpr14_vgpr15_vgpr16_vgpr17_vgpr18_vgpr19
	s_cbranch_vccz .LBB24_31
; %bb.28:                               ;   in Loop: Header=BB24_11 Depth=1
	s_and_b64 vcc, exec, s[0:1]
	s_cbranch_vccz .LBB24_36
.LBB24_29:                              ;   in Loop: Header=BB24_11 Depth=1
	s_and_b64 vcc, exec, s[0:1]
	s_cbranch_vccz .LBB24_41
.LBB24_30:                              ;   in Loop: Header=BB24_11 Depth=1
	s_and_b64 vcc, exec, s[0:1]
	s_cbranch_vccnz .LBB24_10
	s_branch .LBB24_46
.LBB24_31:                              ;   in Loop: Header=BB24_11 Depth=1
	v_lshl_add_u64 v[12:13], v[0:1], 0, s[52:53]
	v_mul_lo_u32 v16, s40, v29
	v_mul_lo_u32 v17, s41, v28
	v_mad_u64_u32 v[14:15], s[2:3], s40, v28, v[12:13]
	v_add3_u32 v15, v17, v15, v16
	v_or_b32_e32 v25, s21, v15
	v_cmp_ne_u64_e32 vcc, 0, v[24:25]
                                        ; implicit-def: $vgpr12_vgpr13
	s_and_saveexec_b64 s[2:3], vcc
	s_xor_b64 s[68:69], exec, s[2:3]
	s_cbranch_execz .LBB24_33
; %bb.32:                               ;   in Loop: Header=BB24_11 Depth=1
	s_ashr_i32 s2, s21, 31
	s_add_u32 s4, s20, s2
	s_mov_b32 s3, s2
	s_addc_u32 s5, s21, s2
	s_xor_b64 s[70:71], s[4:5], s[2:3]
	v_cvt_f32_u32_e32 v12, s70
	v_cvt_f32_u32_e32 v13, s71
	s_sub_u32 s4, 0, s70
	s_subb_u32 s5, 0, s71
	v_ashrrev_i32_e32 v16, 31, v15
	v_fmac_f32_e32 v12, 0x4f800000, v13
	v_rcp_f32_e32 v12, v12
	v_mov_b32_e32 v17, v16
	v_mul_f32_e32 v12, 0x5f7ffffc, v12
	v_mul_f32_e32 v13, 0x2f800000, v12
	v_trunc_f32_e32 v13, v13
	v_fmac_f32_e32 v12, 0xcf800000, v13
	v_cvt_u32_f32_e32 v13, v13
	v_cvt_u32_f32_e32 v12, v12
	v_readfirstlane_b32 s77, v13
	v_readfirstlane_b32 s2, v12
	s_mul_i32 s3, s4, s77
	s_mul_hi_u32 s79, s4, s2
	s_mul_i32 s78, s5, s2
	s_add_i32 s3, s79, s3
	s_add_i32 s3, s3, s78
	s_mul_i32 s80, s4, s2
	s_mul_i32 s79, s2, s3
	s_mul_hi_u32 s81, s2, s80
	s_mul_hi_u32 s78, s2, s3
	s_add_u32 s79, s81, s79
	s_addc_u32 s78, 0, s78
	s_mul_hi_u32 s82, s77, s80
	s_mul_i32 s80, s77, s80
	s_add_u32 s79, s79, s80
	s_mul_hi_u32 s81, s77, s3
	s_addc_u32 s78, s78, s82
	s_addc_u32 s79, s81, 0
	s_mul_i32 s3, s77, s3
	s_add_u32 s3, s78, s3
	s_addc_u32 s78, 0, s79
	s_add_u32 s79, s2, s3
	s_cselect_b64 s[2:3], -1, 0
	s_cmp_lg_u64 s[2:3], 0
	s_addc_u32 s77, s77, s78
	s_mul_i32 s2, s4, s77
	s_mul_hi_u32 s3, s4, s79
	s_add_i32 s2, s3, s2
	s_mul_i32 s5, s5, s79
	s_add_i32 s2, s2, s5
	s_mul_i32 s4, s4, s79
	s_mul_hi_u32 s5, s77, s4
	s_mul_i32 s78, s77, s4
	s_mul_i32 s81, s79, s2
	s_mul_hi_u32 s4, s79, s4
	s_mul_hi_u32 s80, s79, s2
	s_add_u32 s4, s4, s81
	s_addc_u32 s80, 0, s80
	s_add_u32 s4, s4, s78
	s_mul_hi_u32 s3, s77, s2
	s_addc_u32 s4, s80, s5
	s_addc_u32 s3, s3, 0
	s_mul_i32 s2, s77, s2
	s_add_u32 s2, s4, s2
	s_addc_u32 s4, 0, s3
	s_add_u32 s5, s79, s2
	s_cselect_b64 s[2:3], -1, 0
	s_cmp_lg_u64 s[2:3], 0
	v_lshl_add_u64 v[12:13], v[14:15], 0, v[16:17]
	s_addc_u32 s4, s77, s4
	v_xor_b32_e32 v25, v12, v16
	v_xor_b32_e32 v17, v13, v16
	v_mad_u64_u32 v[12:13], s[2:3], v25, s4, 0
	v_mul_hi_u32 v14, v25, s5
	v_mov_b32_e32 v15, v24
	v_lshl_add_u64 v[12:13], v[14:15], 0, v[12:13]
	v_mad_u64_u32 v[18:19], s[2:3], v17, s5, 0
	v_add_co_u32_e32 v12, vcc, v12, v18
	v_mad_u64_u32 v[14:15], s[2:3], v17, s4, 0
	s_nop 0
	v_addc_co_u32_e32 v12, vcc, v13, v19, vcc
	v_mov_b32_e32 v13, v24
	s_nop 0
	v_addc_co_u32_e32 v15, vcc, 0, v15, vcc
	v_lshl_add_u64 v[12:13], v[12:13], 0, v[14:15]
	v_mul_lo_u32 v14, s71, v12
	v_mul_lo_u32 v15, s70, v13
	v_mad_u64_u32 v[12:13], s[2:3], s70, v12, 0
	v_add3_u32 v13, v13, v15, v14
	v_sub_u32_e32 v14, v17, v13
	v_mov_b32_e32 v15, s71
	v_sub_co_u32_e32 v12, vcc, v25, v12
	s_nop 1
	v_subb_co_u32_e64 v14, s[2:3], v14, v15, vcc
	v_subrev_co_u32_e64 v18, s[2:3], s70, v12
	v_subb_co_u32_e32 v13, vcc, v17, v13, vcc
	s_nop 0
	v_subbrev_co_u32_e64 v19, s[4:5], 0, v14, s[2:3]
	v_cmp_le_u32_e64 s[4:5], s71, v19
	v_subb_co_u32_e64 v14, s[2:3], v14, v15, s[2:3]
	s_nop 0
	v_cndmask_b32_e64 v25, 0, -1, s[4:5]
	v_cmp_le_u32_e64 s[4:5], s70, v18
	v_subrev_co_u32_e64 v15, s[2:3], s70, v18
	s_nop 0
	v_cndmask_b32_e64 v36, 0, -1, s[4:5]
	v_cmp_eq_u32_e64 s[4:5], s71, v19
	v_subbrev_co_u32_e64 v14, s[2:3], 0, v14, s[2:3]
	s_nop 0
	v_cndmask_b32_e64 v25, v25, v36, s[4:5]
	v_cmp_le_u32_e32 vcc, s71, v13
	v_cmp_ne_u32_e64 s[2:3], 0, v25
	s_nop 0
	v_cndmask_b32_e64 v17, 0, -1, vcc
	v_cmp_le_u32_e32 vcc, s70, v12
	v_cndmask_b32_e64 v14, v19, v14, s[2:3]
	s_nop 0
	v_cndmask_b32_e64 v19, 0, -1, vcc
	v_cmp_eq_u32_e32 vcc, s71, v13
	s_nop 1
	v_cndmask_b32_e32 v17, v17, v19, vcc
	v_cmp_ne_u32_e32 vcc, 0, v17
	s_nop 1
	v_cndmask_b32_e32 v13, v13, v14, vcc
	v_cndmask_b32_e64 v14, v18, v15, s[2:3]
	v_cndmask_b32_e32 v12, v12, v14, vcc
	v_xor_b32_e32 v12, v12, v16
	v_xor_b32_e32 v13, v13, v16
	v_sub_co_u32_e32 v12, vcc, v12, v16
                                        ; implicit-def: $vgpr14_vgpr15
	s_nop 1
	v_subb_co_u32_e32 v13, vcc, v13, v16, vcc
.LBB24_33:                              ;   in Loop: Header=BB24_11 Depth=1
	s_andn2_saveexec_b64 s[2:3], s[68:69]
	s_cbranch_execz .LBB24_35
; %bb.34:                               ;   in Loop: Header=BB24_11 Depth=1
	v_cvt_f32_u32_e32 v12, s20
	s_sub_i32 s4, 0, s20
	v_rcp_iflag_f32_e32 v12, v12
	s_nop 0
	v_mul_f32_e32 v12, 0x4f7ffffe, v12
	v_cvt_u32_f32_e32 v12, v12
	v_mul_lo_u32 v13, s4, v12
	v_mul_hi_u32 v13, v12, v13
	v_add_u32_e32 v12, v12, v13
	v_mul_hi_u32 v12, v14, v12
	v_mul_lo_u32 v12, v12, s20
	v_sub_u32_e32 v12, v14, v12
	v_subrev_u32_e32 v13, s20, v12
	v_cmp_le_u32_e32 vcc, s20, v12
	s_nop 1
	v_cndmask_b32_e32 v12, v12, v13, vcc
	v_subrev_u32_e32 v13, s20, v12
	v_cmp_le_u32_e32 vcc, s20, v12
	s_nop 1
	v_cndmask_b32_e32 v12, v12, v13, vcc
	v_mov_b32_e32 v13, v24
.LBB24_35:                              ;   in Loop: Header=BB24_11 Depth=1
	s_or_b64 exec, exec, s[2:3]
	s_and_b64 vcc, exec, s[0:1]
	s_cbranch_vccnz .LBB24_29
.LBB24_36:                              ;   in Loop: Header=BB24_11 Depth=1
	v_lshl_add_u64 v[14:15], v[0:1], 0, s[66:67]
	v_mul_lo_u32 v25, s40, v31
	v_mul_lo_u32 v38, s41, v30
	v_mad_u64_u32 v[36:37], s[2:3], s40, v30, v[14:15]
	v_add3_u32 v37, v38, v37, v25
	v_or_b32_e32 v25, s21, v37
	v_cmp_ne_u64_e32 vcc, 0, v[24:25]
	s_and_saveexec_b64 s[2:3], vcc
	s_xor_b64 s[68:69], exec, s[2:3]
	s_cbranch_execz .LBB24_38
; %bb.37:                               ;   in Loop: Header=BB24_11 Depth=1
	s_ashr_i32 s2, s21, 31
	s_add_u32 s4, s20, s2
	s_mov_b32 s3, s2
	s_addc_u32 s5, s21, s2
	s_xor_b64 s[70:71], s[4:5], s[2:3]
	v_cvt_f32_u32_e32 v14, s70
	v_cvt_f32_u32_e32 v15, s71
	s_sub_u32 s4, 0, s70
	s_subb_u32 s5, 0, s71
	v_ashrrev_i32_e32 v38, 31, v37
	v_fmac_f32_e32 v14, 0x4f800000, v15
	v_rcp_f32_e32 v14, v14
	v_mov_b32_e32 v39, v38
	v_mul_f32_e32 v14, 0x5f7ffffc, v14
	v_mul_f32_e32 v15, 0x2f800000, v14
	v_trunc_f32_e32 v15, v15
	v_fmac_f32_e32 v14, 0xcf800000, v15
	v_cvt_u32_f32_e32 v15, v15
	v_cvt_u32_f32_e32 v14, v14
	v_readfirstlane_b32 s77, v15
	v_readfirstlane_b32 s2, v14
	s_mul_i32 s3, s4, s77
	s_mul_hi_u32 s79, s4, s2
	s_mul_i32 s78, s5, s2
	s_add_i32 s3, s79, s3
	s_add_i32 s3, s3, s78
	s_mul_i32 s80, s4, s2
	s_mul_i32 s79, s2, s3
	s_mul_hi_u32 s81, s2, s80
	s_mul_hi_u32 s78, s2, s3
	s_add_u32 s79, s81, s79
	s_addc_u32 s78, 0, s78
	s_mul_hi_u32 s82, s77, s80
	s_mul_i32 s80, s77, s80
	s_add_u32 s79, s79, s80
	s_mul_hi_u32 s81, s77, s3
	s_addc_u32 s78, s78, s82
	s_addc_u32 s79, s81, 0
	s_mul_i32 s3, s77, s3
	s_add_u32 s3, s78, s3
	s_addc_u32 s78, 0, s79
	s_add_u32 s79, s2, s3
	s_cselect_b64 s[2:3], -1, 0
	s_cmp_lg_u64 s[2:3], 0
	s_addc_u32 s77, s77, s78
	s_mul_i32 s2, s4, s77
	s_mul_hi_u32 s3, s4, s79
	s_add_i32 s2, s3, s2
	s_mul_i32 s5, s5, s79
	s_add_i32 s2, s2, s5
	s_mul_i32 s4, s4, s79
	s_mul_hi_u32 s5, s77, s4
	s_mul_i32 s78, s77, s4
	s_mul_i32 s81, s79, s2
	s_mul_hi_u32 s4, s79, s4
	s_mul_hi_u32 s80, s79, s2
	s_add_u32 s4, s4, s81
	s_addc_u32 s80, 0, s80
	s_add_u32 s4, s4, s78
	s_mul_hi_u32 s3, s77, s2
	s_addc_u32 s4, s80, s5
	s_addc_u32 s3, s3, 0
	s_mul_i32 s2, s77, s2
	s_add_u32 s2, s4, s2
	s_addc_u32 s4, 0, s3
	s_add_u32 s5, s79, s2
	s_cselect_b64 s[2:3], -1, 0
	s_cmp_lg_u64 s[2:3], 0
	v_lshl_add_u64 v[14:15], v[36:37], 0, v[38:39]
	s_addc_u32 s4, s77, s4
	v_xor_b32_e32 v39, v14, v38
	v_xor_b32_e32 v25, v15, v38
	v_mad_u64_u32 v[14:15], s[2:3], v39, s4, 0
	v_mul_hi_u32 v36, v39, s5
	v_mov_b32_e32 v37, v24
	v_lshl_add_u64 v[14:15], v[36:37], 0, v[14:15]
	v_mad_u64_u32 v[40:41], s[2:3], v25, s5, 0
	v_add_co_u32_e32 v14, vcc, v14, v40
	v_mad_u64_u32 v[36:37], s[2:3], v25, s4, 0
	s_nop 0
	v_addc_co_u32_e32 v14, vcc, v15, v41, vcc
	v_mov_b32_e32 v15, v24
	s_nop 0
	v_addc_co_u32_e32 v37, vcc, 0, v37, vcc
	v_lshl_add_u64 v[14:15], v[14:15], 0, v[36:37]
	v_mul_lo_u32 v36, s71, v14
	v_mul_lo_u32 v37, s70, v15
	v_mad_u64_u32 v[14:15], s[2:3], s70, v14, 0
	v_add3_u32 v15, v15, v37, v36
	v_sub_u32_e32 v36, v25, v15
	v_mov_b32_e32 v37, s71
	v_sub_co_u32_e32 v14, vcc, v39, v14
	s_nop 1
	v_subb_co_u32_e64 v36, s[2:3], v36, v37, vcc
	v_subrev_co_u32_e64 v39, s[2:3], s70, v14
	v_subb_co_u32_e32 v15, vcc, v25, v15, vcc
	s_nop 0
	v_subbrev_co_u32_e64 v40, s[4:5], 0, v36, s[2:3]
	v_cmp_le_u32_e64 s[4:5], s71, v40
	v_subb_co_u32_e64 v36, s[2:3], v36, v37, s[2:3]
	s_nop 0
	v_cndmask_b32_e64 v41, 0, -1, s[4:5]
	v_cmp_le_u32_e64 s[4:5], s70, v39
	v_subrev_co_u32_e64 v37, s[2:3], s70, v39
	s_nop 0
	v_cndmask_b32_e64 v42, 0, -1, s[4:5]
	v_cmp_eq_u32_e64 s[4:5], s71, v40
	v_subbrev_co_u32_e64 v36, s[2:3], 0, v36, s[2:3]
	s_nop 0
	v_cndmask_b32_e64 v41, v41, v42, s[4:5]
	v_cmp_le_u32_e32 vcc, s71, v15
	v_cmp_ne_u32_e64 s[2:3], 0, v41
	s_nop 0
	v_cndmask_b32_e64 v25, 0, -1, vcc
	v_cmp_le_u32_e32 vcc, s70, v14
	v_cndmask_b32_e64 v36, v40, v36, s[2:3]
	s_nop 0
	v_cndmask_b32_e64 v40, 0, -1, vcc
	v_cmp_eq_u32_e32 vcc, s71, v15
	s_nop 1
	v_cndmask_b32_e32 v25, v25, v40, vcc
	v_cmp_ne_u32_e32 vcc, 0, v25
	v_cndmask_b32_e64 v25, v39, v37, s[2:3]
	s_nop 0
	v_cndmask_b32_e32 v14, v14, v25, vcc
	v_cndmask_b32_e32 v15, v15, v36, vcc
	v_xor_b32_e32 v14, v14, v38
	v_xor_b32_e32 v15, v15, v38
	v_sub_co_u32_e32 v14, vcc, v14, v38
                                        ; implicit-def: $vgpr36_vgpr37
	s_nop 1
	v_subb_co_u32_e32 v15, vcc, v15, v38, vcc
.LBB24_38:                              ;   in Loop: Header=BB24_11 Depth=1
	s_andn2_saveexec_b64 s[2:3], s[68:69]
	s_cbranch_execz .LBB24_40
; %bb.39:                               ;   in Loop: Header=BB24_11 Depth=1
	v_cvt_f32_u32_e32 v14, s20
	s_sub_i32 s4, 0, s20
	v_rcp_iflag_f32_e32 v14, v14
	s_nop 0
	v_mul_f32_e32 v14, 0x4f7ffffe, v14
	v_cvt_u32_f32_e32 v14, v14
	v_mul_lo_u32 v15, s4, v14
	v_mul_hi_u32 v15, v14, v15
	v_add_u32_e32 v14, v14, v15
	v_mul_hi_u32 v14, v36, v14
	v_mul_lo_u32 v14, v14, s20
	v_sub_u32_e32 v14, v36, v14
	v_subrev_u32_e32 v15, s20, v14
	v_cmp_le_u32_e32 vcc, s20, v14
	s_nop 1
	v_cndmask_b32_e32 v14, v14, v15, vcc
	v_subrev_u32_e32 v15, s20, v14
	v_cmp_le_u32_e32 vcc, s20, v14
	s_nop 1
	v_cndmask_b32_e32 v14, v14, v15, vcc
	v_mov_b32_e32 v15, v24
.LBB24_40:                              ;   in Loop: Header=BB24_11 Depth=1
	s_or_b64 exec, exec, s[2:3]
	s_and_b64 vcc, exec, s[0:1]
	s_cbranch_vccnz .LBB24_30
.LBB24_41:                              ;   in Loop: Header=BB24_11 Depth=1
	v_lshl_add_u64 v[16:17], v[0:1], 0, s[62:63]
	v_mul_lo_u32 v25, s40, v33
	v_mul_lo_u32 v38, s41, v32
	v_mad_u64_u32 v[36:37], s[2:3], s40, v32, v[16:17]
	v_add3_u32 v37, v38, v37, v25
	v_or_b32_e32 v25, s21, v37
	v_cmp_ne_u64_e32 vcc, 0, v[24:25]
	s_and_saveexec_b64 s[2:3], vcc
	s_xor_b64 s[68:69], exec, s[2:3]
	s_cbranch_execz .LBB24_43
; %bb.42:                               ;   in Loop: Header=BB24_11 Depth=1
	s_ashr_i32 s2, s21, 31
	s_add_u32 s4, s20, s2
	s_mov_b32 s3, s2
	s_addc_u32 s5, s21, s2
	s_xor_b64 s[70:71], s[4:5], s[2:3]
	v_cvt_f32_u32_e32 v16, s70
	v_cvt_f32_u32_e32 v17, s71
	s_sub_u32 s4, 0, s70
	s_subb_u32 s5, 0, s71
	v_ashrrev_i32_e32 v38, 31, v37
	v_fmac_f32_e32 v16, 0x4f800000, v17
	v_rcp_f32_e32 v16, v16
	v_mov_b32_e32 v39, v38
	v_mul_f32_e32 v16, 0x5f7ffffc, v16
	v_mul_f32_e32 v17, 0x2f800000, v16
	v_trunc_f32_e32 v17, v17
	v_fmac_f32_e32 v16, 0xcf800000, v17
	v_cvt_u32_f32_e32 v17, v17
	v_cvt_u32_f32_e32 v16, v16
	v_readfirstlane_b32 s77, v17
	v_readfirstlane_b32 s2, v16
	s_mul_i32 s3, s4, s77
	s_mul_hi_u32 s79, s4, s2
	s_mul_i32 s78, s5, s2
	s_add_i32 s3, s79, s3
	s_add_i32 s3, s3, s78
	s_mul_i32 s80, s4, s2
	s_mul_i32 s79, s2, s3
	s_mul_hi_u32 s81, s2, s80
	s_mul_hi_u32 s78, s2, s3
	s_add_u32 s79, s81, s79
	s_addc_u32 s78, 0, s78
	s_mul_hi_u32 s82, s77, s80
	s_mul_i32 s80, s77, s80
	s_add_u32 s79, s79, s80
	s_mul_hi_u32 s81, s77, s3
	s_addc_u32 s78, s78, s82
	s_addc_u32 s79, s81, 0
	s_mul_i32 s3, s77, s3
	s_add_u32 s3, s78, s3
	s_addc_u32 s78, 0, s79
	s_add_u32 s79, s2, s3
	s_cselect_b64 s[2:3], -1, 0
	s_cmp_lg_u64 s[2:3], 0
	s_addc_u32 s77, s77, s78
	s_mul_i32 s2, s4, s77
	s_mul_hi_u32 s3, s4, s79
	s_add_i32 s2, s3, s2
	s_mul_i32 s5, s5, s79
	s_add_i32 s2, s2, s5
	s_mul_i32 s4, s4, s79
	s_mul_hi_u32 s5, s77, s4
	s_mul_i32 s78, s77, s4
	s_mul_i32 s81, s79, s2
	s_mul_hi_u32 s4, s79, s4
	s_mul_hi_u32 s80, s79, s2
	s_add_u32 s4, s4, s81
	s_addc_u32 s80, 0, s80
	s_add_u32 s4, s4, s78
	s_mul_hi_u32 s3, s77, s2
	s_addc_u32 s4, s80, s5
	s_addc_u32 s3, s3, 0
	s_mul_i32 s2, s77, s2
	s_add_u32 s2, s4, s2
	s_addc_u32 s4, 0, s3
	s_add_u32 s5, s79, s2
	s_cselect_b64 s[2:3], -1, 0
	s_cmp_lg_u64 s[2:3], 0
	v_lshl_add_u64 v[16:17], v[36:37], 0, v[38:39]
	s_addc_u32 s4, s77, s4
	v_xor_b32_e32 v39, v16, v38
	v_xor_b32_e32 v25, v17, v38
	v_mad_u64_u32 v[16:17], s[2:3], v39, s4, 0
	v_mul_hi_u32 v36, v39, s5
	v_mov_b32_e32 v37, v24
	v_lshl_add_u64 v[16:17], v[36:37], 0, v[16:17]
	v_mad_u64_u32 v[40:41], s[2:3], v25, s5, 0
	v_add_co_u32_e32 v16, vcc, v16, v40
	v_mad_u64_u32 v[36:37], s[2:3], v25, s4, 0
	s_nop 0
	v_addc_co_u32_e32 v16, vcc, v17, v41, vcc
	v_mov_b32_e32 v17, v24
	s_nop 0
	v_addc_co_u32_e32 v37, vcc, 0, v37, vcc
	v_lshl_add_u64 v[16:17], v[16:17], 0, v[36:37]
	v_mul_lo_u32 v36, s71, v16
	v_mul_lo_u32 v37, s70, v17
	v_mad_u64_u32 v[16:17], s[2:3], s70, v16, 0
	v_add3_u32 v17, v17, v37, v36
	v_sub_u32_e32 v36, v25, v17
	v_mov_b32_e32 v37, s71
	v_sub_co_u32_e32 v16, vcc, v39, v16
	s_nop 1
	v_subb_co_u32_e64 v36, s[2:3], v36, v37, vcc
	v_subrev_co_u32_e64 v39, s[2:3], s70, v16
	v_subb_co_u32_e32 v17, vcc, v25, v17, vcc
	s_nop 0
	v_subbrev_co_u32_e64 v40, s[4:5], 0, v36, s[2:3]
	v_cmp_le_u32_e64 s[4:5], s71, v40
	v_subb_co_u32_e64 v36, s[2:3], v36, v37, s[2:3]
	s_nop 0
	v_cndmask_b32_e64 v41, 0, -1, s[4:5]
	v_cmp_le_u32_e64 s[4:5], s70, v39
	v_subrev_co_u32_e64 v37, s[2:3], s70, v39
	s_nop 0
	v_cndmask_b32_e64 v42, 0, -1, s[4:5]
	v_cmp_eq_u32_e64 s[4:5], s71, v40
	v_subbrev_co_u32_e64 v36, s[2:3], 0, v36, s[2:3]
	s_nop 0
	v_cndmask_b32_e64 v41, v41, v42, s[4:5]
	v_cmp_le_u32_e32 vcc, s71, v17
	v_cmp_ne_u32_e64 s[2:3], 0, v41
	s_nop 0
	v_cndmask_b32_e64 v25, 0, -1, vcc
	v_cmp_le_u32_e32 vcc, s70, v16
	v_cndmask_b32_e64 v36, v40, v36, s[2:3]
	s_nop 0
	v_cndmask_b32_e64 v40, 0, -1, vcc
	v_cmp_eq_u32_e32 vcc, s71, v17
	s_nop 1
	v_cndmask_b32_e32 v25, v25, v40, vcc
	v_cmp_ne_u32_e32 vcc, 0, v25
	v_cndmask_b32_e64 v25, v39, v37, s[2:3]
	s_nop 0
	v_cndmask_b32_e32 v16, v16, v25, vcc
	v_cndmask_b32_e32 v17, v17, v36, vcc
	v_xor_b32_e32 v16, v16, v38
	v_xor_b32_e32 v17, v17, v38
	v_sub_co_u32_e32 v16, vcc, v16, v38
                                        ; implicit-def: $vgpr36_vgpr37
	s_nop 1
	v_subb_co_u32_e32 v17, vcc, v17, v38, vcc
.LBB24_43:                              ;   in Loop: Header=BB24_11 Depth=1
	s_andn2_saveexec_b64 s[2:3], s[68:69]
	s_cbranch_execz .LBB24_45
; %bb.44:                               ;   in Loop: Header=BB24_11 Depth=1
	v_cvt_f32_u32_e32 v16, s20
	s_sub_i32 s4, 0, s20
	v_rcp_iflag_f32_e32 v16, v16
	s_nop 0
	v_mul_f32_e32 v16, 0x4f7ffffe, v16
	v_cvt_u32_f32_e32 v16, v16
	v_mul_lo_u32 v17, s4, v16
	v_mul_hi_u32 v17, v16, v17
	v_add_u32_e32 v16, v16, v17
	v_mul_hi_u32 v16, v36, v16
	v_mul_lo_u32 v16, v16, s20
	v_sub_u32_e32 v16, v36, v16
	v_subrev_u32_e32 v17, s20, v16
	v_cmp_le_u32_e32 vcc, s20, v16
	s_nop 1
	v_cndmask_b32_e32 v16, v16, v17, vcc
	v_subrev_u32_e32 v17, s20, v16
	v_cmp_le_u32_e32 vcc, s20, v16
	s_nop 1
	v_cndmask_b32_e32 v16, v16, v17, vcc
	v_mov_b32_e32 v17, v24
.LBB24_45:                              ;   in Loop: Header=BB24_11 Depth=1
	s_or_b64 exec, exec, s[2:3]
	s_and_b64 vcc, exec, s[0:1]
	s_cbranch_vccnz .LBB24_10
.LBB24_46:                              ;   in Loop: Header=BB24_11 Depth=1
	v_lshl_add_u64 v[18:19], v[0:1], 0, s[64:65]
	v_mul_lo_u32 v25, s40, v35
	v_mul_lo_u32 v38, s41, v34
	v_mad_u64_u32 v[36:37], s[0:1], s40, v34, v[18:19]
	v_add3_u32 v37, v38, v37, v25
	v_or_b32_e32 v25, s21, v37
	v_cmp_ne_u64_e32 vcc, 0, v[24:25]
	s_and_saveexec_b64 s[0:1], vcc
	s_xor_b64 s[4:5], exec, s[0:1]
	s_cbranch_execz .LBB24_48
; %bb.47:                               ;   in Loop: Header=BB24_11 Depth=1
	s_ashr_i32 s0, s21, 31
	s_add_u32 s2, s20, s0
	s_mov_b32 s1, s0
	s_addc_u32 s3, s21, s0
	s_xor_b64 s[68:69], s[2:3], s[0:1]
	v_cvt_f32_u32_e32 v18, s68
	v_cvt_f32_u32_e32 v19, s69
	s_sub_u32 s2, 0, s68
	s_subb_u32 s3, 0, s69
	v_ashrrev_i32_e32 v38, 31, v37
	v_fmac_f32_e32 v18, 0x4f800000, v19
	v_rcp_f32_e32 v18, v18
	v_mov_b32_e32 v39, v38
	v_mul_f32_e32 v18, 0x5f7ffffc, v18
	v_mul_f32_e32 v19, 0x2f800000, v18
	v_trunc_f32_e32 v19, v19
	v_fmac_f32_e32 v18, 0xcf800000, v19
	v_cvt_u32_f32_e32 v19, v19
	v_cvt_u32_f32_e32 v18, v18
	v_readfirstlane_b32 s70, v19
	v_readfirstlane_b32 s0, v18
	s_mul_i32 s1, s2, s70
	s_mul_hi_u32 s77, s2, s0
	s_mul_i32 s71, s3, s0
	s_add_i32 s1, s77, s1
	s_add_i32 s1, s1, s71
	s_mul_i32 s78, s2, s0
	s_mul_i32 s77, s0, s1
	s_mul_hi_u32 s79, s0, s78
	s_mul_hi_u32 s71, s0, s1
	s_add_u32 s77, s79, s77
	s_addc_u32 s71, 0, s71
	s_mul_hi_u32 s80, s70, s78
	s_mul_i32 s78, s70, s78
	s_add_u32 s77, s77, s78
	s_mul_hi_u32 s79, s70, s1
	s_addc_u32 s71, s71, s80
	s_addc_u32 s77, s79, 0
	s_mul_i32 s1, s70, s1
	s_add_u32 s1, s71, s1
	s_addc_u32 s71, 0, s77
	s_add_u32 s77, s0, s1
	s_cselect_b64 s[0:1], -1, 0
	s_cmp_lg_u64 s[0:1], 0
	s_addc_u32 s70, s70, s71
	s_mul_i32 s0, s2, s70
	s_mul_hi_u32 s1, s2, s77
	s_add_i32 s0, s1, s0
	s_mul_i32 s3, s3, s77
	s_add_i32 s0, s0, s3
	s_mul_i32 s2, s2, s77
	s_mul_hi_u32 s3, s70, s2
	s_mul_i32 s71, s70, s2
	s_mul_i32 s79, s77, s0
	s_mul_hi_u32 s2, s77, s2
	s_mul_hi_u32 s78, s77, s0
	s_add_u32 s2, s2, s79
	s_addc_u32 s78, 0, s78
	s_add_u32 s2, s2, s71
	s_mul_hi_u32 s1, s70, s0
	s_addc_u32 s2, s78, s3
	s_addc_u32 s1, s1, 0
	s_mul_i32 s0, s70, s0
	s_add_u32 s0, s2, s0
	s_addc_u32 s2, 0, s1
	s_add_u32 s3, s77, s0
	s_cselect_b64 s[0:1], -1, 0
	s_cmp_lg_u64 s[0:1], 0
	v_lshl_add_u64 v[18:19], v[36:37], 0, v[38:39]
	s_addc_u32 s2, s70, s2
	v_xor_b32_e32 v39, v18, v38
	v_xor_b32_e32 v25, v19, v38
	v_mad_u64_u32 v[18:19], s[0:1], v39, s2, 0
	v_mul_hi_u32 v36, v39, s3
	v_mov_b32_e32 v37, v24
	v_lshl_add_u64 v[18:19], v[36:37], 0, v[18:19]
	v_mad_u64_u32 v[40:41], s[0:1], v25, s3, 0
	v_add_co_u32_e32 v18, vcc, v18, v40
	v_mad_u64_u32 v[36:37], s[0:1], v25, s2, 0
	s_nop 0
	v_addc_co_u32_e32 v18, vcc, v19, v41, vcc
	v_mov_b32_e32 v19, v24
	s_nop 0
	v_addc_co_u32_e32 v37, vcc, 0, v37, vcc
	v_lshl_add_u64 v[18:19], v[18:19], 0, v[36:37]
	v_mul_lo_u32 v36, s69, v18
	v_mul_lo_u32 v37, s68, v19
	v_mad_u64_u32 v[18:19], s[0:1], s68, v18, 0
	v_add3_u32 v19, v19, v37, v36
	v_sub_u32_e32 v36, v25, v19
	v_mov_b32_e32 v37, s69
	v_sub_co_u32_e32 v18, vcc, v39, v18
	s_nop 1
	v_subb_co_u32_e64 v36, s[0:1], v36, v37, vcc
	v_subrev_co_u32_e64 v39, s[0:1], s68, v18
	v_subb_co_u32_e32 v19, vcc, v25, v19, vcc
	s_nop 0
	v_subbrev_co_u32_e64 v40, s[2:3], 0, v36, s[0:1]
	v_cmp_le_u32_e64 s[2:3], s69, v40
	v_subb_co_u32_e64 v36, s[0:1], v36, v37, s[0:1]
	s_nop 0
	v_cndmask_b32_e64 v41, 0, -1, s[2:3]
	v_cmp_le_u32_e64 s[2:3], s68, v39
	v_subrev_co_u32_e64 v37, s[0:1], s68, v39
	s_nop 0
	v_cndmask_b32_e64 v42, 0, -1, s[2:3]
	v_cmp_eq_u32_e64 s[2:3], s69, v40
	v_subbrev_co_u32_e64 v36, s[0:1], 0, v36, s[0:1]
	s_nop 0
	v_cndmask_b32_e64 v41, v41, v42, s[2:3]
	v_cmp_le_u32_e32 vcc, s69, v19
	v_cmp_ne_u32_e64 s[0:1], 0, v41
	s_nop 0
	v_cndmask_b32_e64 v25, 0, -1, vcc
	v_cmp_le_u32_e32 vcc, s68, v18
	v_cndmask_b32_e64 v36, v40, v36, s[0:1]
	s_nop 0
	v_cndmask_b32_e64 v40, 0, -1, vcc
	v_cmp_eq_u32_e32 vcc, s69, v19
	s_nop 1
	v_cndmask_b32_e32 v25, v25, v40, vcc
	v_cmp_ne_u32_e32 vcc, 0, v25
	v_cndmask_b32_e64 v25, v39, v37, s[0:1]
	s_nop 0
	v_cndmask_b32_e32 v18, v18, v25, vcc
	v_cndmask_b32_e32 v19, v19, v36, vcc
	v_xor_b32_e32 v18, v18, v38
	v_xor_b32_e32 v19, v19, v38
	v_sub_co_u32_e32 v18, vcc, v18, v38
                                        ; implicit-def: $vgpr36_vgpr37
	s_nop 1
	v_subb_co_u32_e32 v19, vcc, v19, v38, vcc
.LBB24_48:                              ;   in Loop: Header=BB24_11 Depth=1
	s_andn2_saveexec_b64 s[0:1], s[4:5]
	s_cbranch_execz .LBB24_9
; %bb.49:                               ;   in Loop: Header=BB24_11 Depth=1
	v_cvt_f32_u32_e32 v18, s20
	s_sub_i32 s2, 0, s20
	v_rcp_iflag_f32_e32 v18, v18
	s_nop 0
	v_mul_f32_e32 v18, 0x4f7ffffe, v18
	v_cvt_u32_f32_e32 v18, v18
	v_mul_lo_u32 v19, s2, v18
	v_mul_hi_u32 v19, v18, v19
	v_add_u32_e32 v18, v18, v19
	v_mul_hi_u32 v18, v36, v18
	v_mul_lo_u32 v18, v18, s20
	v_sub_u32_e32 v18, v36, v18
	v_subrev_u32_e32 v19, s20, v18
	v_cmp_le_u32_e32 vcc, s20, v18
	s_nop 1
	v_cndmask_b32_e32 v18, v18, v19, vcc
	v_subrev_u32_e32 v19, s20, v18
	v_cmp_le_u32_e32 vcc, s20, v18
	s_nop 1
	v_cndmask_b32_e32 v18, v18, v19, vcc
	v_mov_b32_e32 v19, v24
	s_branch .LBB24_9
.LBB24_50:
	s_or_b64 exec, exec, s[50:51]
	v_mad_u64_u32 v[2:3], s[0:1], v22, s10, v[2:3]
	v_mul_lo_u32 v0, v22, s11
	v_mul_lo_u32 v1, v23, s10
	v_cmp_ne_u64_e32 vcc, v[20:21], v[22:23]
	v_add3_u32 v3, v1, v3, v0
	v_mov_b64_e32 v[4:5], s[40:41]
	s_and_b64 s[0:1], vcc, exec
	s_andn2_saveexec_b64 s[2:3], s[24:25]
	s_cbranch_execz .LBB24_7
.LBB24_51:
	s_sub_u32 s4, 0, s8
	s_subb_u32 s5, 0, s9
	v_mov_b64_e32 v[4:5], s[4:5]
	s_or_b64 s[0:1], s[0:1], exec
	s_or_b64 exec, exec, s[2:3]
	s_and_b64 exec, exec, s[0:1]
	s_cbranch_execz .LBB24_64
.LBB24_52:
	v_cvt_f32_u32_e32 v0, s8
	s_sub_u32 s14, 0, s14
	v_cndmask_b32_e64 v6, 0, 1, s[22:23]
	s_subb_u32 s15, 0, s15
	v_rcp_iflag_f32_e32 v1, v0
	s_sub_i32 s2, 0, s8
	v_cmp_ne_u32_e64 s[0:1], 1, v6
	s_mov_b64 s[24:25], 0
	v_mul_f32_e32 v1, 0x4f7ffffe, v1
	v_cvt_u32_f32_e32 v1, v1
	v_mov_b32_e32 v0, 0
	s_ashr_i32 s22, s9, 31
	s_ashr_i32 s26, s21, 31
	v_mul_lo_u32 v6, s2, v1
	v_mul_hi_u32 v6, v1, v6
	v_add_u32_e32 v12, v1, v6
	s_branch .LBB24_55
.LBB24_53:                              ;   in Loop: Header=BB24_55 Depth=1
	s_or_b64 exec, exec, s[2:3]
	v_ashrrev_i32_e32 v1, 31, v11
	v_and_b32_e32 v9, s21, v1
	v_and_b32_e32 v8, s20, v1
	v_lshl_add_u64 v[8:9], v[8:9], 0, v[10:11]
	v_mov_b32_e32 v1, s21
	v_sub_co_u32_e32 v10, vcc, s20, v8
	s_nop 1
	v_subb_co_u32_e32 v1, vcc, v1, v9, vcc
	v_cmp_gt_i64_e32 vcc, s[12:13], v[8:9]
	s_nop 1
	v_cndmask_b32_e32 v9, v1, v9, vcc
	v_cndmask_b32_e32 v8, v10, v8, vcc
.LBB24_54:                              ;   in Loop: Header=BB24_55 Depth=1
	v_mov_b64_e32 v[10:11], s[16:17]
	v_mad_u64_u32 v[10:11], s[2:3], v6, s12, v[10:11]
	v_mul_lo_u32 v1, v6, s13
	v_mul_lo_u32 v6, v7, s12
	v_add3_u32 v11, v6, v11, v1
	v_lshl_add_u64 v[6:7], v[10:11], 0, v[8:9]
	global_load_ubyte v1, v[6:7], off
	v_lshl_add_u64 v[6:7], s[18:19], 0, v[2:3]
	v_lshl_add_u64 v[2:3], v[2:3], 0, s[10:11]
	v_cmp_le_i64_e32 vcc, s[6:7], v[2:3]
	s_or_b64 s[24:25], vcc, s[24:25]
	s_waitcnt vmcnt(0)
	global_store_byte v[6:7], v1, off
	s_andn2_b64 exec, exec, s[24:25]
	s_cbranch_execz .LBB24_64
.LBB24_55:                              ; =>This Inner Loop Header: Depth=1
	v_or_b32_e32 v1, s9, v3
	v_cmp_ne_u64_e32 vcc, 0, v[0:1]
                                        ; implicit-def: $vgpr6_vgpr7
	s_and_saveexec_b64 s[2:3], vcc
	s_xor_b64 s[4:5], exec, s[2:3]
	s_cbranch_execnz .LBB24_58
; %bb.56:                               ;   in Loop: Header=BB24_55 Depth=1
	s_andn2_saveexec_b64 s[2:3], s[4:5]
	s_cbranch_execnz .LBB24_59
.LBB24_57:                              ;   in Loop: Header=BB24_55 Depth=1
	s_or_b64 exec, exec, s[2:3]
	s_and_b64 vcc, exec, s[0:1]
	v_mov_b64_e32 v[8:9], 0
	s_cbranch_vccnz .LBB24_54
	s_branch .LBB24_60
.LBB24_58:                              ;   in Loop: Header=BB24_55 Depth=1
	s_add_u32 s2, s8, s22
	s_mov_b32 s23, s22
	s_addc_u32 s3, s9, s22
	s_xor_b64 s[28:29], s[2:3], s[22:23]
	v_cvt_f32_u32_e32 v1, s28
	v_cvt_f32_u32_e32 v6, s29
	s_sub_u32 s23, 0, s28
	s_subb_u32 s27, 0, s29
	v_mov_b32_e32 v11, v0
	v_fmac_f32_e32 v1, 0x4f800000, v6
	v_rcp_f32_e32 v1, v1
	s_nop 0
	v_mul_f32_e32 v1, 0x5f7ffffc, v1
	v_mul_f32_e32 v6, 0x2f800000, v1
	v_trunc_f32_e32 v6, v6
	v_fmac_f32_e32 v1, 0xcf800000, v6
	v_cvt_u32_f32_e32 v6, v6
	v_cvt_u32_f32_e32 v1, v1
	v_readfirstlane_b32 s30, v6
	v_readfirstlane_b32 s2, v1
	s_mul_i32 s3, s23, s30
	s_mul_hi_u32 s33, s23, s2
	s_mul_i32 s31, s27, s2
	s_add_i32 s3, s33, s3
	s_add_i32 s3, s3, s31
	s_mul_i32 s34, s23, s2
	s_mul_i32 s33, s2, s3
	s_mul_hi_u32 s35, s2, s34
	s_mul_hi_u32 s31, s2, s3
	s_add_u32 s33, s35, s33
	s_addc_u32 s31, 0, s31
	s_mul_hi_u32 s36, s30, s34
	s_mul_i32 s34, s30, s34
	s_add_u32 s33, s33, s34
	s_mul_hi_u32 s35, s30, s3
	s_addc_u32 s31, s31, s36
	s_addc_u32 s33, s35, 0
	s_mul_i32 s3, s30, s3
	s_add_u32 s3, s31, s3
	s_addc_u32 s31, 0, s33
	s_add_u32 s33, s2, s3
	s_cselect_b64 s[2:3], -1, 0
	s_cmp_lg_u64 s[2:3], 0
	s_addc_u32 s30, s30, s31
	s_mul_i32 s2, s23, s30
	s_mul_hi_u32 s3, s23, s33
	s_add_i32 s2, s3, s2
	s_mul_i32 s27, s27, s33
	s_add_i32 s2, s2, s27
	s_mul_i32 s23, s23, s33
	s_mul_hi_u32 s27, s30, s23
	s_mul_i32 s31, s30, s23
	s_mul_i32 s35, s33, s2
	s_mul_hi_u32 s23, s33, s23
	s_mul_hi_u32 s34, s33, s2
	s_add_u32 s23, s23, s35
	s_addc_u32 s34, 0, s34
	s_add_u32 s23, s23, s31
	s_mul_hi_u32 s3, s30, s2
	s_addc_u32 s23, s34, s27
	s_addc_u32 s3, s3, 0
	s_mul_i32 s2, s30, s2
	s_add_u32 s2, s23, s2
	s_addc_u32 s23, 0, s3
	s_add_u32 s27, s33, s2
	v_ashrrev_i32_e32 v6, 31, v3
	s_cselect_b64 s[2:3], -1, 0
	v_mov_b32_e32 v7, v6
	s_cmp_lg_u64 s[2:3], 0
	v_lshl_add_u64 v[8:9], v[2:3], 0, v[6:7]
	s_addc_u32 s23, s30, s23
	v_xor_b32_e32 v7, v8, v6
	v_xor_b32_e32 v1, v9, v6
	v_mad_u64_u32 v[8:9], s[2:3], v7, s23, 0
	v_mul_hi_u32 v10, v7, s27
	v_lshl_add_u64 v[8:9], v[10:11], 0, v[8:9]
	v_mad_u64_u32 v[14:15], s[2:3], v1, s27, 0
	v_add_co_u32_e32 v8, vcc, v8, v14
	v_mad_u64_u32 v[10:11], s[2:3], v1, s23, 0
	s_nop 0
	v_addc_co_u32_e32 v8, vcc, v9, v15, vcc
	v_mov_b32_e32 v9, v0
	s_nop 0
	v_addc_co_u32_e32 v11, vcc, 0, v11, vcc
	v_lshl_add_u64 v[8:9], v[8:9], 0, v[10:11]
	v_mul_lo_u32 v13, s29, v8
	v_mul_lo_u32 v14, s28, v9
	v_mad_u64_u32 v[10:11], s[2:3], s28, v8, 0
	v_add3_u32 v13, v11, v14, v13
	v_sub_u32_e32 v11, v1, v13
	v_mov_b32_e32 v14, s29
	v_sub_co_u32_e32 v7, vcc, v7, v10
	s_nop 1
	v_subb_co_u32_e64 v10, s[2:3], v11, v14, vcc
	v_subrev_co_u32_e64 v11, s[2:3], s28, v7
	v_subb_co_u32_e32 v1, vcc, v1, v13, vcc
	s_nop 0
	v_subbrev_co_u32_e64 v10, s[2:3], 0, v10, s[2:3]
	v_cmp_le_u32_e64 s[2:3], s29, v10
	v_cmp_le_u32_e32 vcc, s29, v1
	s_nop 0
	v_cndmask_b32_e64 v14, 0, -1, s[2:3]
	v_cmp_le_u32_e64 s[2:3], s28, v11
	v_cndmask_b32_e64 v13, 0, -1, vcc
	v_cmp_le_u32_e32 vcc, s28, v7
	v_cndmask_b32_e64 v11, 0, -1, s[2:3]
	v_cmp_eq_u32_e64 s[2:3], s29, v10
	v_cndmask_b32_e64 v7, 0, -1, vcc
	v_cmp_eq_u32_e32 vcc, s29, v1
	v_cndmask_b32_e64 v16, v14, v11, s[2:3]
	v_lshl_add_u64 v[10:11], v[8:9], 0, 2
	v_lshl_add_u64 v[14:15], v[8:9], 0, 1
	v_cmp_ne_u32_e64 s[2:3], 0, v16
	v_cndmask_b32_e32 v1, v13, v7, vcc
	v_cmp_ne_u32_e32 vcc, 0, v1
	v_cndmask_b32_e64 v7, v14, v10, s[2:3]
	v_cndmask_b32_e64 v11, v15, v11, s[2:3]
	v_cndmask_b32_e32 v7, v8, v7, vcc
	v_xor_b32_e32 v8, s22, v6
	v_cndmask_b32_e32 v1, v9, v11, vcc
	v_xor_b32_e32 v6, v7, v8
	v_xor_b32_e32 v1, v1, v8
	v_sub_co_u32_e32 v6, vcc, v6, v8
	s_nop 1
	v_subb_co_u32_e32 v7, vcc, v1, v8, vcc
	s_andn2_saveexec_b64 s[2:3], s[4:5]
	s_cbranch_execz .LBB24_57
.LBB24_59:                              ;   in Loop: Header=BB24_55 Depth=1
	v_mul_hi_u32 v1, v2, v12
	v_mul_lo_u32 v6, v1, s8
	v_sub_u32_e32 v6, v2, v6
	v_subrev_u32_e32 v7, s8, v6
	v_cmp_le_u32_e32 vcc, s8, v6
	s_nop 1
	v_cndmask_b32_e32 v6, v6, v7, vcc
	v_add_u32_e32 v7, 1, v1
	v_cndmask_b32_e32 v1, v1, v7, vcc
	v_add_u32_e32 v7, 1, v1
	v_cmp_le_u32_e32 vcc, s8, v6
	s_nop 1
	v_cndmask_b32_e32 v6, v1, v7, vcc
	v_mov_b32_e32 v7, v0
	s_or_b64 exec, exec, s[2:3]
	s_and_b64 vcc, exec, s[0:1]
	v_mov_b64_e32 v[8:9], 0
	s_cbranch_vccnz .LBB24_54
.LBB24_60:                              ;   in Loop: Header=BB24_55 Depth=1
	v_lshl_add_u64 v[8:9], s[14:15], 0, v[2:3]
	v_mul_lo_u32 v1, v4, v7
	v_mul_lo_u32 v10, v5, v6
	v_mad_u64_u32 v[8:9], s[2:3], v4, v6, v[8:9]
	v_add3_u32 v9, v10, v9, v1
	v_or_b32_e32 v1, s21, v9
	v_cmp_ne_u64_e32 vcc, 0, v[0:1]
                                        ; implicit-def: $vgpr10_vgpr11
	s_and_saveexec_b64 s[2:3], vcc
	s_xor_b64 s[28:29], exec, s[2:3]
	s_cbranch_execz .LBB24_62
; %bb.61:                               ;   in Loop: Header=BB24_55 Depth=1
	s_add_u32 s2, s20, s26
	s_mov_b32 s27, s26
	s_addc_u32 s3, s21, s26
	s_xor_b64 s[30:31], s[2:3], s[26:27]
	v_cvt_f32_u32_e32 v1, s30
	v_cvt_f32_u32_e32 v10, s31
	s_sub_u32 s4, 0, s30
	s_subb_u32 s5, 0, s31
	v_ashrrev_i32_e32 v14, 31, v9
	v_fmac_f32_e32 v1, 0x4f800000, v10
	v_rcp_f32_e32 v1, v1
	v_mov_b32_e32 v15, v14
	v_lshl_add_u64 v[8:9], v[8:9], 0, v[14:15]
	v_xor_b32_e32 v13, v8, v14
	v_mul_f32_e32 v1, 0x5f7ffffc, v1
	v_mul_f32_e32 v10, 0x2f800000, v1
	v_trunc_f32_e32 v10, v10
	v_fmac_f32_e32 v1, 0xcf800000, v10
	v_cvt_u32_f32_e32 v10, v10
	v_cvt_u32_f32_e32 v1, v1
	v_mov_b32_e32 v11, v0
	v_readfirstlane_b32 s23, v10
	v_readfirstlane_b32 s2, v1
	s_mul_i32 s3, s4, s23
	s_mul_hi_u32 s33, s4, s2
	s_mul_i32 s27, s5, s2
	s_add_i32 s3, s33, s3
	s_add_i32 s3, s3, s27
	s_mul_i32 s34, s4, s2
	s_mul_i32 s33, s2, s3
	s_mul_hi_u32 s35, s2, s34
	s_mul_hi_u32 s27, s2, s3
	s_add_u32 s33, s35, s33
	s_addc_u32 s27, 0, s27
	s_mul_hi_u32 s36, s23, s34
	s_mul_i32 s34, s23, s34
	s_add_u32 s33, s33, s34
	s_mul_hi_u32 s35, s23, s3
	s_addc_u32 s27, s27, s36
	s_addc_u32 s33, s35, 0
	s_mul_i32 s3, s23, s3
	s_add_u32 s3, s27, s3
	s_addc_u32 s27, 0, s33
	s_add_u32 s33, s2, s3
	s_cselect_b64 s[2:3], -1, 0
	s_cmp_lg_u64 s[2:3], 0
	s_addc_u32 s23, s23, s27
	s_mul_i32 s2, s4, s23
	s_mul_hi_u32 s3, s4, s33
	s_add_i32 s2, s3, s2
	s_mul_i32 s5, s5, s33
	s_add_i32 s2, s2, s5
	s_mul_i32 s4, s4, s33
	s_mul_hi_u32 s5, s23, s4
	s_mul_i32 s27, s23, s4
	s_mul_i32 s35, s33, s2
	s_mul_hi_u32 s4, s33, s4
	s_mul_hi_u32 s34, s33, s2
	s_add_u32 s4, s4, s35
	s_addc_u32 s34, 0, s34
	s_add_u32 s4, s4, s27
	s_mul_hi_u32 s3, s23, s2
	s_addc_u32 s4, s34, s5
	s_addc_u32 s3, s3, 0
	s_mul_i32 s2, s23, s2
	s_add_u32 s2, s4, s2
	s_addc_u32 s4, 0, s3
	s_add_u32 s5, s33, s2
	s_cselect_b64 s[2:3], -1, 0
	s_cmp_lg_u64 s[2:3], 0
	s_addc_u32 s4, s23, s4
	v_xor_b32_e32 v1, v9, v14
	v_mad_u64_u32 v[8:9], s[2:3], v13, s4, 0
	v_mul_hi_u32 v10, v13, s5
	v_lshl_add_u64 v[8:9], v[10:11], 0, v[8:9]
	v_mad_u64_u32 v[16:17], s[2:3], v1, s5, 0
	v_add_co_u32_e32 v8, vcc, v8, v16
	v_mad_u64_u32 v[10:11], s[2:3], v1, s4, 0
	s_nop 0
	v_addc_co_u32_e32 v8, vcc, v9, v17, vcc
	v_mov_b32_e32 v9, v0
	s_nop 0
	v_addc_co_u32_e32 v11, vcc, 0, v11, vcc
	v_lshl_add_u64 v[8:9], v[8:9], 0, v[10:11]
	v_mul_lo_u32 v10, s31, v8
	v_mul_lo_u32 v11, s30, v9
	v_mad_u64_u32 v[8:9], s[2:3], s30, v8, 0
	v_add3_u32 v9, v9, v11, v10
	v_sub_u32_e32 v10, v1, v9
	v_mov_b32_e32 v11, s31
	v_sub_co_u32_e32 v8, vcc, v13, v8
	s_nop 1
	v_subb_co_u32_e64 v10, s[2:3], v10, v11, vcc
	v_subrev_co_u32_e64 v13, s[2:3], s30, v8
	v_subb_co_u32_e32 v1, vcc, v1, v9, vcc
	s_nop 0
	v_subbrev_co_u32_e64 v15, s[4:5], 0, v10, s[2:3]
	v_cmp_le_u32_e64 s[4:5], s31, v15
	v_subb_co_u32_e64 v10, s[2:3], v10, v11, s[2:3]
	s_nop 0
	v_cndmask_b32_e64 v16, 0, -1, s[4:5]
	v_cmp_le_u32_e64 s[4:5], s30, v13
	v_subrev_co_u32_e64 v11, s[2:3], s30, v13
	s_nop 0
	v_cndmask_b32_e64 v17, 0, -1, s[4:5]
	v_cmp_eq_u32_e64 s[4:5], s31, v15
	v_subbrev_co_u32_e64 v10, s[2:3], 0, v10, s[2:3]
	s_nop 0
	v_cndmask_b32_e64 v16, v16, v17, s[4:5]
	v_cmp_le_u32_e32 vcc, s31, v1
	v_cmp_ne_u32_e64 s[2:3], 0, v16
	s_nop 0
	v_cndmask_b32_e64 v9, 0, -1, vcc
	v_cmp_le_u32_e32 vcc, s30, v8
	v_cndmask_b32_e64 v10, v15, v10, s[2:3]
	s_nop 0
	v_cndmask_b32_e64 v15, 0, -1, vcc
	v_cmp_eq_u32_e32 vcc, s31, v1
	s_nop 1
	v_cndmask_b32_e32 v9, v9, v15, vcc
	v_cmp_ne_u32_e32 vcc, 0, v9
	v_cndmask_b32_e64 v9, v13, v11, s[2:3]
	s_nop 0
	v_cndmask_b32_e32 v8, v8, v9, vcc
	v_cndmask_b32_e32 v1, v1, v10, vcc
	v_xor_b32_e32 v8, v8, v14
	v_xor_b32_e32 v1, v1, v14
	v_sub_co_u32_e32 v10, vcc, v8, v14
                                        ; implicit-def: $vgpr8_vgpr9
	s_nop 1
	v_subb_co_u32_e32 v11, vcc, v1, v14, vcc
.LBB24_62:                              ;   in Loop: Header=BB24_55 Depth=1
	s_andn2_saveexec_b64 s[2:3], s[28:29]
	s_cbranch_execz .LBB24_53
; %bb.63:                               ;   in Loop: Header=BB24_55 Depth=1
	v_cvt_f32_u32_e32 v1, s20
	s_sub_i32 s4, 0, s20
	v_mov_b32_e32 v11, v0
	v_rcp_iflag_f32_e32 v1, v1
	s_nop 0
	v_mul_f32_e32 v1, 0x4f7ffffe, v1
	v_cvt_u32_f32_e32 v1, v1
	v_mul_lo_u32 v9, s4, v1
	v_mul_hi_u32 v9, v1, v9
	v_add_u32_e32 v1, v1, v9
	v_mul_hi_u32 v1, v8, v1
	v_mul_lo_u32 v1, v1, s20
	v_sub_u32_e32 v1, v8, v1
	v_subrev_u32_e32 v8, s20, v1
	v_cmp_le_u32_e32 vcc, s20, v1
	s_nop 1
	v_cndmask_b32_e32 v1, v1, v8, vcc
	v_subrev_u32_e32 v8, s20, v1
	v_cmp_le_u32_e32 vcc, s20, v1
	s_nop 1
	v_cndmask_b32_e32 v10, v1, v8, vcc
	s_branch .LBB24_53
.LBB24_64:
	s_endpgm
	.section	.rodata,"a",@progbits
	.p2align	6, 0x0
	.amdhsa_kernel _ZN2at6native12_GLOBAL__N_121reflection_pad1d_flatIhEEvPKT_PS3_lllll
		.amdhsa_group_segment_fixed_size 0
		.amdhsa_private_segment_fixed_size 0
		.amdhsa_kernarg_size 312
		.amdhsa_user_sgpr_count 2
		.amdhsa_user_sgpr_dispatch_ptr 0
		.amdhsa_user_sgpr_queue_ptr 0
		.amdhsa_user_sgpr_kernarg_segment_ptr 1
		.amdhsa_user_sgpr_dispatch_id 0
		.amdhsa_user_sgpr_kernarg_preload_length 0
		.amdhsa_user_sgpr_kernarg_preload_offset 0
		.amdhsa_user_sgpr_private_segment_size 0
		.amdhsa_uses_dynamic_stack 0
		.amdhsa_enable_private_segment 0
		.amdhsa_system_sgpr_workgroup_id_x 1
		.amdhsa_system_sgpr_workgroup_id_y 0
		.amdhsa_system_sgpr_workgroup_id_z 0
		.amdhsa_system_sgpr_workgroup_info 0
		.amdhsa_system_vgpr_workitem_id 0
		.amdhsa_next_free_vgpr 44
		.amdhsa_next_free_sgpr 83
		.amdhsa_accum_offset 44
		.amdhsa_reserve_vcc 1
		.amdhsa_float_round_mode_32 0
		.amdhsa_float_round_mode_16_64 0
		.amdhsa_float_denorm_mode_32 3
		.amdhsa_float_denorm_mode_16_64 3
		.amdhsa_dx10_clamp 1
		.amdhsa_ieee_mode 1
		.amdhsa_fp16_overflow 0
		.amdhsa_tg_split 0
		.amdhsa_exception_fp_ieee_invalid_op 0
		.amdhsa_exception_fp_denorm_src 0
		.amdhsa_exception_fp_ieee_div_zero 0
		.amdhsa_exception_fp_ieee_overflow 0
		.amdhsa_exception_fp_ieee_underflow 0
		.amdhsa_exception_fp_ieee_inexact 0
		.amdhsa_exception_int_div_zero 0
	.end_amdhsa_kernel
	.section	.text._ZN2at6native12_GLOBAL__N_121reflection_pad1d_flatIhEEvPKT_PS3_lllll,"axG",@progbits,_ZN2at6native12_GLOBAL__N_121reflection_pad1d_flatIhEEvPKT_PS3_lllll,comdat
.Lfunc_end24:
	.size	_ZN2at6native12_GLOBAL__N_121reflection_pad1d_flatIhEEvPKT_PS3_lllll, .Lfunc_end24-_ZN2at6native12_GLOBAL__N_121reflection_pad1d_flatIhEEvPKT_PS3_lllll
                                        ; -- End function
	.set _ZN2at6native12_GLOBAL__N_121reflection_pad1d_flatIhEEvPKT_PS3_lllll.num_vgpr, 44
	.set _ZN2at6native12_GLOBAL__N_121reflection_pad1d_flatIhEEvPKT_PS3_lllll.num_agpr, 0
	.set _ZN2at6native12_GLOBAL__N_121reflection_pad1d_flatIhEEvPKT_PS3_lllll.numbered_sgpr, 83
	.set _ZN2at6native12_GLOBAL__N_121reflection_pad1d_flatIhEEvPKT_PS3_lllll.num_named_barrier, 0
	.set _ZN2at6native12_GLOBAL__N_121reflection_pad1d_flatIhEEvPKT_PS3_lllll.private_seg_size, 0
	.set _ZN2at6native12_GLOBAL__N_121reflection_pad1d_flatIhEEvPKT_PS3_lllll.uses_vcc, 1
	.set _ZN2at6native12_GLOBAL__N_121reflection_pad1d_flatIhEEvPKT_PS3_lllll.uses_flat_scratch, 0
	.set _ZN2at6native12_GLOBAL__N_121reflection_pad1d_flatIhEEvPKT_PS3_lllll.has_dyn_sized_stack, 0
	.set _ZN2at6native12_GLOBAL__N_121reflection_pad1d_flatIhEEvPKT_PS3_lllll.has_recursion, 0
	.set _ZN2at6native12_GLOBAL__N_121reflection_pad1d_flatIhEEvPKT_PS3_lllll.has_indirect_call, 0
	.section	.AMDGPU.csdata,"",@progbits
; Kernel info:
; codeLenInByte = 10428
; TotalNumSgprs: 89
; NumVgprs: 44
; NumAgprs: 0
; TotalNumVgprs: 44
; ScratchSize: 0
; MemoryBound: 0
; FloatMode: 240
; IeeeMode: 1
; LDSByteSize: 0 bytes/workgroup (compile time only)
; SGPRBlocks: 11
; VGPRBlocks: 5
; NumSGPRsForWavesPerEU: 89
; NumVGPRsForWavesPerEU: 44
; AccumOffset: 44
; Occupancy: 8
; WaveLimiterHint : 0
; COMPUTE_PGM_RSRC2:SCRATCH_EN: 0
; COMPUTE_PGM_RSRC2:USER_SGPR: 2
; COMPUTE_PGM_RSRC2:TRAP_HANDLER: 0
; COMPUTE_PGM_RSRC2:TGID_X_EN: 1
; COMPUTE_PGM_RSRC2:TGID_Y_EN: 0
; COMPUTE_PGM_RSRC2:TGID_Z_EN: 0
; COMPUTE_PGM_RSRC2:TIDIG_COMP_CNT: 0
; COMPUTE_PGM_RSRC3_GFX90A:ACCUM_OFFSET: 10
; COMPUTE_PGM_RSRC3_GFX90A:TG_SPLIT: 0
	.section	.text._ZN2at6native12_GLOBAL__N_127reflection_pad1d_out_kernelIaEEvPKT_PS3_lll,"axG",@progbits,_ZN2at6native12_GLOBAL__N_127reflection_pad1d_out_kernelIaEEvPKT_PS3_lll,comdat
	.globl	_ZN2at6native12_GLOBAL__N_127reflection_pad1d_out_kernelIaEEvPKT_PS3_lll ; -- Begin function _ZN2at6native12_GLOBAL__N_127reflection_pad1d_out_kernelIaEEvPKT_PS3_lll
	.p2align	8
	.type	_ZN2at6native12_GLOBAL__N_127reflection_pad1d_out_kernelIaEEvPKT_PS3_lll,@function
_ZN2at6native12_GLOBAL__N_127reflection_pad1d_out_kernelIaEEvPKT_PS3_lll: ; @_ZN2at6native12_GLOBAL__N_127reflection_pad1d_out_kernelIaEEvPKT_PS3_lll
; %bb.0:
	s_load_dword s5, s[0:1], 0x34
	s_load_dwordx2 s[16:17], s[0:1], 0x20
	s_load_dwordx8 s[8:15], s[0:1], 0x0
	s_add_u32 s6, s0, 40
	s_addc_u32 s7, s1, 0
	s_waitcnt lgkmcnt(0)
	s_and_b32 s0, s5, 0xffff
	v_mov_b32_e32 v1, 0
	v_mov_b32_e32 v2, s2
	s_add_u32 s2, s14, s12
	v_mad_u64_u32 v[0:1], s[0:1], s0, v2, v[0:1]
	s_addc_u32 s5, s15, s13
	s_add_u32 s0, s2, s16
	s_addc_u32 s1, s5, s17
	v_cmp_gt_i64_e32 vcc, s[0:1], v[0:1]
	s_and_saveexec_b64 s[16:17], vcc
	s_cbranch_execz .LBB25_2
; %bb.1:
	s_load_dword s18, s[6:7], 0x4
	s_sub_u32 s6, 0, s14
	s_subb_u32 s7, 0, s15
	v_mov_b32_e32 v2, s15
	v_subrev_co_u32_e32 v3, vcc, s14, v0
	s_waitcnt lgkmcnt(0)
	s_mul_i32 s4, s18, s4
	s_add_i32 s4, s4, s3
	s_mul_i32 s1, s1, s4
	s_mul_hi_u32 s3, s0, s4
	v_subb_co_u32_e32 v2, vcc, v1, v2, vcc
	v_cmp_gt_i64_e64 s[16:17], s[6:7], 0
	s_add_i32 s1, s3, s1
	v_ashrrev_i32_e32 v4, 31, v2
	s_and_b64 s[16:17], s[16:17], exec
	v_xor_b32_e32 v5, v2, v4
	v_xor_b32_e32 v2, v3, v4
	s_cselect_b32 s3, s7, 0
	s_cselect_b32 s16, s6, 0
	v_cmp_gt_i64_e64 s[6:7], s[14:15], 0
	v_sub_co_u32_e32 v2, vcc, v2, v4
	s_and_b64 s[6:7], s[6:7], exec
	s_nop 0
	v_subb_co_u32_e32 v3, vcc, v5, v4, vcc
	s_cselect_b32 s7, s15, 0
	s_cselect_b32 s6, s14, 0
	v_mov_b32_e32 v5, s5
	v_subrev_co_u32_e32 v4, vcc, s2, v0
	s_not_b64 s[6:7], s[6:7]
	s_nop 0
	v_subb_co_u32_e32 v5, vcc, v1, v5, vcc
	v_lshl_add_u64 v[4:5], v[4:5], 0, 1
	s_add_u32 s2, s2, s14
	v_ashrrev_i32_e32 v6, 31, v5
	s_addc_u32 s5, s5, s15
	v_xor_b32_e32 v4, v4, v6
	s_add_u32 s2, s2, s6
	v_xor_b32_e32 v5, v5, v6
	v_sub_co_u32_e32 v4, vcc, v4, v6
	s_addc_u32 s5, s5, s7
	s_nop 0
	v_subb_co_u32_e32 v5, vcc, v5, v6, vcc
	s_add_u32 s2, s2, s16
	s_addc_u32 s3, s5, s3
	v_lshl_add_u64 v[4:5], v[0:1], 0, v[4:5]
	v_mov_b32_e32 v6, s3
	v_sub_co_u32_e32 v4, vcc, s2, v4
	s_mul_i32 s0, s0, s4
	s_nop 0
	v_subb_co_u32_e32 v5, vcc, v6, v5, vcc
	v_lshl_add_u64 v[4:5], s[8:9], 0, v[4:5]
	v_lshl_add_u64 v[2:3], v[4:5], 0, v[2:3]
	v_mov_b32_e32 v4, s4
	v_mad_u64_u32 v[2:3], s[2:3], s12, v4, v[2:3]
	s_mul_i32 s2, s13, s4
	s_nop 0
	v_add_u32_e32 v3, s2, v3
	global_load_ubyte v2, v[2:3], off
	s_add_u32 s0, s10, s0
	s_addc_u32 s1, s11, s1
	v_lshl_add_u64 v[0:1], s[0:1], 0, v[0:1]
	s_waitcnt vmcnt(0)
	global_store_byte v[0:1], v2, off
.LBB25_2:
	s_endpgm
	.section	.rodata,"a",@progbits
	.p2align	6, 0x0
	.amdhsa_kernel _ZN2at6native12_GLOBAL__N_127reflection_pad1d_out_kernelIaEEvPKT_PS3_lll
		.amdhsa_group_segment_fixed_size 0
		.amdhsa_private_segment_fixed_size 0
		.amdhsa_kernarg_size 296
		.amdhsa_user_sgpr_count 2
		.amdhsa_user_sgpr_dispatch_ptr 0
		.amdhsa_user_sgpr_queue_ptr 0
		.amdhsa_user_sgpr_kernarg_segment_ptr 1
		.amdhsa_user_sgpr_dispatch_id 0
		.amdhsa_user_sgpr_kernarg_preload_length 0
		.amdhsa_user_sgpr_kernarg_preload_offset 0
		.amdhsa_user_sgpr_private_segment_size 0
		.amdhsa_uses_dynamic_stack 0
		.amdhsa_enable_private_segment 0
		.amdhsa_system_sgpr_workgroup_id_x 1
		.amdhsa_system_sgpr_workgroup_id_y 1
		.amdhsa_system_sgpr_workgroup_id_z 1
		.amdhsa_system_sgpr_workgroup_info 0
		.amdhsa_system_vgpr_workitem_id 0
		.amdhsa_next_free_vgpr 7
		.amdhsa_next_free_sgpr 19
		.amdhsa_accum_offset 8
		.amdhsa_reserve_vcc 1
		.amdhsa_float_round_mode_32 0
		.amdhsa_float_round_mode_16_64 0
		.amdhsa_float_denorm_mode_32 3
		.amdhsa_float_denorm_mode_16_64 3
		.amdhsa_dx10_clamp 1
		.amdhsa_ieee_mode 1
		.amdhsa_fp16_overflow 0
		.amdhsa_tg_split 0
		.amdhsa_exception_fp_ieee_invalid_op 0
		.amdhsa_exception_fp_denorm_src 0
		.amdhsa_exception_fp_ieee_div_zero 0
		.amdhsa_exception_fp_ieee_overflow 0
		.amdhsa_exception_fp_ieee_underflow 0
		.amdhsa_exception_fp_ieee_inexact 0
		.amdhsa_exception_int_div_zero 0
	.end_amdhsa_kernel
	.section	.text._ZN2at6native12_GLOBAL__N_127reflection_pad1d_out_kernelIaEEvPKT_PS3_lll,"axG",@progbits,_ZN2at6native12_GLOBAL__N_127reflection_pad1d_out_kernelIaEEvPKT_PS3_lll,comdat
.Lfunc_end25:
	.size	_ZN2at6native12_GLOBAL__N_127reflection_pad1d_out_kernelIaEEvPKT_PS3_lll, .Lfunc_end25-_ZN2at6native12_GLOBAL__N_127reflection_pad1d_out_kernelIaEEvPKT_PS3_lll
                                        ; -- End function
	.set _ZN2at6native12_GLOBAL__N_127reflection_pad1d_out_kernelIaEEvPKT_PS3_lll.num_vgpr, 7
	.set _ZN2at6native12_GLOBAL__N_127reflection_pad1d_out_kernelIaEEvPKT_PS3_lll.num_agpr, 0
	.set _ZN2at6native12_GLOBAL__N_127reflection_pad1d_out_kernelIaEEvPKT_PS3_lll.numbered_sgpr, 19
	.set _ZN2at6native12_GLOBAL__N_127reflection_pad1d_out_kernelIaEEvPKT_PS3_lll.num_named_barrier, 0
	.set _ZN2at6native12_GLOBAL__N_127reflection_pad1d_out_kernelIaEEvPKT_PS3_lll.private_seg_size, 0
	.set _ZN2at6native12_GLOBAL__N_127reflection_pad1d_out_kernelIaEEvPKT_PS3_lll.uses_vcc, 1
	.set _ZN2at6native12_GLOBAL__N_127reflection_pad1d_out_kernelIaEEvPKT_PS3_lll.uses_flat_scratch, 0
	.set _ZN2at6native12_GLOBAL__N_127reflection_pad1d_out_kernelIaEEvPKT_PS3_lll.has_dyn_sized_stack, 0
	.set _ZN2at6native12_GLOBAL__N_127reflection_pad1d_out_kernelIaEEvPKT_PS3_lll.has_recursion, 0
	.set _ZN2at6native12_GLOBAL__N_127reflection_pad1d_out_kernelIaEEvPKT_PS3_lll.has_indirect_call, 0
	.section	.AMDGPU.csdata,"",@progbits
; Kernel info:
; codeLenInByte = 388
; TotalNumSgprs: 25
; NumVgprs: 7
; NumAgprs: 0
; TotalNumVgprs: 7
; ScratchSize: 0
; MemoryBound: 0
; FloatMode: 240
; IeeeMode: 1
; LDSByteSize: 0 bytes/workgroup (compile time only)
; SGPRBlocks: 3
; VGPRBlocks: 0
; NumSGPRsForWavesPerEU: 25
; NumVGPRsForWavesPerEU: 7
; AccumOffset: 8
; Occupancy: 8
; WaveLimiterHint : 0
; COMPUTE_PGM_RSRC2:SCRATCH_EN: 0
; COMPUTE_PGM_RSRC2:USER_SGPR: 2
; COMPUTE_PGM_RSRC2:TRAP_HANDLER: 0
; COMPUTE_PGM_RSRC2:TGID_X_EN: 1
; COMPUTE_PGM_RSRC2:TGID_Y_EN: 1
; COMPUTE_PGM_RSRC2:TGID_Z_EN: 1
; COMPUTE_PGM_RSRC2:TIDIG_COMP_CNT: 0
; COMPUTE_PGM_RSRC3_GFX90A:ACCUM_OFFSET: 1
; COMPUTE_PGM_RSRC3_GFX90A:TG_SPLIT: 0
	.section	.text._ZN2at6native12_GLOBAL__N_121reflection_pad1d_flatIaEEvPKT_PS3_lllll,"axG",@progbits,_ZN2at6native12_GLOBAL__N_121reflection_pad1d_flatIaEEvPKT_PS3_lllll,comdat
	.globl	_ZN2at6native12_GLOBAL__N_121reflection_pad1d_flatIaEEvPKT_PS3_lllll ; -- Begin function _ZN2at6native12_GLOBAL__N_121reflection_pad1d_flatIaEEvPKT_PS3_lllll
	.p2align	8
	.type	_ZN2at6native12_GLOBAL__N_121reflection_pad1d_flatIaEEvPKT_PS3_lllll,@function
_ZN2at6native12_GLOBAL__N_121reflection_pad1d_flatIaEEvPKT_PS3_lllll: ; @_ZN2at6native12_GLOBAL__N_121reflection_pad1d_flatIaEEvPKT_PS3_lllll
; %bb.0:
	s_load_dword s3, s[0:1], 0x44
	s_load_dwordx4 s[8:11], s[0:1], 0x28
	s_add_u32 s4, s0, 56
	s_addc_u32 s5, s1, 0
	v_mov_b32_e32 v1, 0
	s_waitcnt lgkmcnt(0)
	s_and_b32 s3, s3, 0xffff
	s_mul_i32 s6, s10, s9
	s_mul_hi_u32 s7, s10, s8
	s_add_i32 s6, s7, s6
	s_mul_i32 s7, s11, s8
	v_mov_b32_e32 v2, s2
	s_add_i32 s7, s6, s7
	s_mul_i32 s6, s10, s8
	v_mad_u64_u32 v[2:3], s[10:11], s3, v2, v[0:1]
	v_cmp_gt_i64_e32 vcc, s[6:7], v[2:3]
	s_and_saveexec_b64 s[10:11], vcc
	s_cbranch_execz .LBB26_64
; %bb.1:
	s_load_dword s56, s[4:5], 0x0
	v_mov_b32_e32 v4, s3
	s_mov_b32 s57, 0
	v_mov_b32_e32 v5, s57
	s_waitcnt lgkmcnt(0)
	s_add_u32 s28, s2, s56
	s_addc_u32 s29, 0, 0
	s_mul_i32 s29, s29, s3
	v_mad_u64_u32 v[6:7], s[4:5], s28, v4, v[0:1]
	v_add_u32_e32 v7, s29, v7
	v_mov_b32_e32 v4, s7
	v_cmp_gt_i64_e32 vcc, s[6:7], v[6:7]
	s_mul_hi_u32 s11, s3, s56
	s_mul_i32 s10, s3, s56
	v_cndmask_b32_e32 v9, v7, v4, vcc
	v_mov_b32_e32 v4, s6
	v_cndmask_b32_e32 v8, v6, v4, vcc
	v_cndmask_b32_e64 v4, 0, 1, vcc
	v_lshl_add_u64 v[6:7], v[6:7], 0, v[4:5]
	v_sub_co_u32_e32 v8, vcc, v8, v6
	v_mov_b32_e32 v6, v1
	s_nop 0
	v_subb_co_u32_e32 v9, vcc, v9, v7, vcc
	v_or_b32_e32 v7, s11, v9
	v_cmp_ne_u64_e32 vcc, 0, v[6:7]
                                        ; implicit-def: $vgpr6_vgpr7
	s_and_saveexec_b64 s[4:5], vcc
	s_xor_b64 s[12:13], exec, s[4:5]
	s_cbranch_execz .LBB26_3
; %bb.2:
	v_cvt_f32_u32_e32 v6, s10
	v_cvt_f32_u32_e32 v7, s11
	s_sub_u32 s14, 0, s10
	s_subb_u32 s15, 0, s11
	v_mov_b32_e32 v11, 0
	v_fmamk_f32 v6, v7, 0x4f800000, v6
	v_rcp_f32_e32 v6, v6
	s_nop 0
	v_mul_f32_e32 v6, 0x5f7ffffc, v6
	v_mul_f32_e32 v7, 0x2f800000, v6
	v_trunc_f32_e32 v7, v7
	v_fmamk_f32 v6, v7, 0xcf800000, v6
	v_cvt_u32_f32_e32 v7, v7
	v_cvt_u32_f32_e32 v6, v6
	v_readfirstlane_b32 s16, v7
	v_readfirstlane_b32 s4, v6
	s_mul_i32 s5, s14, s16
	s_mul_hi_u32 s18, s14, s4
	s_mul_i32 s17, s15, s4
	s_add_i32 s5, s18, s5
	s_mul_i32 s19, s14, s4
	s_add_i32 s5, s5, s17
	s_mul_i32 s18, s4, s5
	s_mul_hi_u32 s20, s4, s19
	s_mul_hi_u32 s17, s4, s5
	s_add_u32 s18, s20, s18
	s_addc_u32 s17, 0, s17
	s_mul_hi_u32 s21, s16, s19
	s_mul_i32 s19, s16, s19
	s_add_u32 s18, s18, s19
	s_mul_hi_u32 s20, s16, s5
	s_addc_u32 s17, s17, s21
	s_addc_u32 s18, s20, 0
	s_mul_i32 s5, s16, s5
	s_add_u32 s5, s17, s5
	s_addc_u32 s17, 0, s18
	s_add_u32 s18, s4, s5
	s_cselect_b64 s[4:5], -1, 0
	s_cmp_lg_u64 s[4:5], 0
	s_addc_u32 s16, s16, s17
	s_mul_i32 s4, s14, s16
	s_mul_hi_u32 s5, s14, s18
	s_add_i32 s4, s5, s4
	s_mul_i32 s15, s15, s18
	s_add_i32 s4, s4, s15
	s_mul_i32 s14, s14, s18
	s_mul_hi_u32 s15, s16, s14
	s_mul_i32 s17, s16, s14
	s_mul_i32 s20, s18, s4
	s_mul_hi_u32 s14, s18, s14
	s_mul_hi_u32 s19, s18, s4
	s_add_u32 s14, s14, s20
	s_addc_u32 s19, 0, s19
	s_add_u32 s14, s14, s17
	s_mul_hi_u32 s5, s16, s4
	s_addc_u32 s14, s19, s15
	s_addc_u32 s5, s5, 0
	s_mul_i32 s4, s16, s4
	s_add_u32 s4, s14, s4
	s_addc_u32 s14, 0, s5
	s_add_u32 s15, s18, s4
	s_cselect_b64 s[4:5], -1, 0
	s_cmp_lg_u64 s[4:5], 0
	s_addc_u32 s14, s16, s14
	v_mad_u64_u32 v[6:7], s[4:5], v8, s14, 0
	v_mul_hi_u32 v10, v8, s15
	v_lshl_add_u64 v[6:7], v[10:11], 0, v[6:7]
	v_mad_u64_u32 v[14:15], s[4:5], v9, s15, 0
	v_add_co_u32_e32 v6, vcc, v6, v14
	v_mad_u64_u32 v[12:13], s[4:5], v9, s14, 0
	s_nop 0
	v_addc_co_u32_e32 v10, vcc, v7, v15, vcc
	s_nop 1
	v_addc_co_u32_e32 v13, vcc, 0, v13, vcc
	v_lshl_add_u64 v[6:7], v[10:11], 0, v[12:13]
	v_mul_lo_u32 v12, s11, v6
	v_mul_lo_u32 v13, s10, v7
	v_mad_u64_u32 v[10:11], s[4:5], s10, v6, 0
	v_add3_u32 v14, v11, v13, v12
	v_sub_u32_e32 v11, v9, v14
	v_mov_b32_e32 v12, s11
	v_sub_co_u32_e32 v8, vcc, v8, v10
	s_nop 1
	v_subb_co_u32_e64 v10, s[4:5], v11, v12, vcc
	v_subrev_co_u32_e64 v11, s[4:5], s10, v8
	v_subb_co_u32_e32 v9, vcc, v9, v14, vcc
	s_nop 0
	v_subbrev_co_u32_e64 v10, s[4:5], 0, v10, s[4:5]
	v_cmp_le_u32_e64 s[4:5], s11, v10
	v_cmp_le_u32_e32 vcc, s11, v9
	s_nop 0
	v_cndmask_b32_e64 v12, 0, -1, s[4:5]
	v_cmp_le_u32_e64 s[4:5], s10, v11
	s_nop 1
	v_cndmask_b32_e64 v11, 0, -1, s[4:5]
	v_cmp_eq_u32_e64 s[4:5], s11, v10
	s_nop 1
	v_cndmask_b32_e64 v15, v12, v11, s[4:5]
	v_lshl_add_u64 v[10:11], v[6:7], 0, 2
	v_lshl_add_u64 v[12:13], v[6:7], 0, 1
	v_cmp_ne_u32_e64 s[4:5], 0, v15
	s_nop 1
	v_cndmask_b32_e64 v11, v13, v11, s[4:5]
	v_cndmask_b32_e64 v13, 0, -1, vcc
	v_cmp_le_u32_e32 vcc, s10, v8
	s_nop 1
	v_cndmask_b32_e64 v8, 0, -1, vcc
	v_cmp_eq_u32_e32 vcc, s11, v9
	s_nop 1
	v_cndmask_b32_e32 v8, v13, v8, vcc
	v_cmp_ne_u32_e32 vcc, 0, v8
	v_cndmask_b32_e64 v8, v12, v10, s[4:5]
	s_nop 0
	v_cndmask_b32_e32 v7, v7, v11, vcc
	v_cndmask_b32_e32 v6, v6, v8, vcc
                                        ; implicit-def: $vgpr8
.LBB26_3:
	s_or_saveexec_b64 s[4:5], s[12:13]
	s_load_dwordx2 s[16:17], s[0:1], 0x0
	s_xor_b64 exec, exec, s[4:5]
	s_cbranch_execz .LBB26_5
; %bb.4:
	v_cvt_f32_u32_e32 v6, s10
	s_sub_i32 s12, 0, s10
	v_rcp_iflag_f32_e32 v6, v6
	s_nop 0
	v_mul_f32_e32 v6, 0x4f7ffffe, v6
	v_cvt_u32_f32_e32 v6, v6
	v_mul_lo_u32 v7, s12, v6
	v_mul_hi_u32 v7, v6, v7
	v_add_u32_e32 v6, v6, v7
	v_mul_hi_u32 v6, v8, v6
	v_mul_lo_u32 v7, v6, s10
	v_sub_u32_e32 v7, v8, v7
	v_add_u32_e32 v9, 1, v6
	v_subrev_u32_e32 v8, s10, v7
	v_cmp_le_u32_e32 vcc, s10, v7
	s_nop 1
	v_cndmask_b32_e32 v7, v7, v8, vcc
	v_cndmask_b32_e32 v6, v6, v9, vcc
	v_add_u32_e32 v8, 1, v6
	v_cmp_le_u32_e32 vcc, s10, v7
	v_mov_b32_e32 v7, 0
	s_nop 0
	v_cndmask_b32_e32 v6, v6, v8, vcc
.LBB26_5:
	s_or_b64 exec, exec, s[4:5]
	s_load_dwordx4 s[12:15], s[0:1], 0x10
	s_load_dwordx2 s[18:19], s[0:1], 0x8
	v_lshl_add_u64 v[4:5], v[6:7], 0, v[4:5]
	v_lshl_add_u64 v[20:21], v[4:5], 0, 1
	s_mov_b64 s[0:1], 0
	s_waitcnt lgkmcnt(0)
	s_lshl_b64 s[4:5], s[12:13], 1
	s_add_u32 s20, s4, -2
	s_addc_u32 s21, s5, -1
	v_cmp_lt_i64_e64 s[26:27], s[20:21], 1
	v_cmp_gt_i64_e64 s[22:23], s[20:21], 0
	v_cmp_lt_u64_e32 vcc, 3, v[20:21]
                                        ; implicit-def: $vgpr4_vgpr5
	s_and_saveexec_b64 s[4:5], vcc
	s_xor_b64 s[24:25], exec, s[4:5]
	s_cbranch_execnz .LBB26_8
; %bb.6:
	s_andn2_saveexec_b64 s[2:3], s[24:25]
	s_cbranch_execnz .LBB26_51
.LBB26_7:
	s_or_b64 exec, exec, s[2:3]
	s_and_b64 exec, exec, s[0:1]
	s_cbranch_execnz .LBB26_52
	s_branch .LBB26_64
.LBB26_8:
	s_mul_hi_u32 s0, s28, s3
	s_add_i32 s67, s0, s29
	s_mul_i32 s66, s28, s3
	s_xor_b64 s[28:29], s[26:27], -1
	s_lshl_b64 s[42:43], s[10:11], 2
	v_mad_u64_u32 v[8:9], s[0:1], s10, 3, v[2:3]
	s_sub_u32 s40, 0, s8
	s_mul_i32 s5, s3, s2
	v_mov_b32_e32 v10, v9
	s_subb_u32 s41, 0, s9
	s_mul_hi_u32 s4, s3, s2
	v_mad_u64_u32 v[6:7], s[0:1], s10, 2, v[2:3]
	v_mad_u64_u32 v[4:5], s[0:1], s10, 1, v[2:3]
	;; [unrolled: 1-line block ×3, first 2 shown]
	s_sub_u32 s52, s5, s14
	s_subb_u32 s53, s4, s15
	s_mul_i32 s1, s56, 3
	s_mul_hi_u32 s0, s56, 3
	s_add_u32 s1, s1, s2
	s_addc_u32 s0, s0, 0
	s_mul_i32 s0, s0, s3
	s_mul_hi_u32 s54, s1, s3
	s_add_i32 s65, s54, s0
	s_mul_i32 s64, s1, s3
	s_add_u32 s54, s18, s64
	s_addc_u32 s55, s19, s65
	s_lshl_b64 s[0:1], s[56:57], 1
	s_add_u32 s0, s0, s2
	s_addc_u32 s1, s1, 0
	s_mul_i32 s1, s1, s3
	s_mul_hi_u32 s2, s0, s3
	s_add_i32 s2, s2, s1
	s_mul_i32 s0, s0, s3
	s_add_u32 s56, s18, s0
	s_addc_u32 s57, s19, s2
	s_add_u32 s58, s18, s66
	s_addc_u32 s59, s19, s67
	;; [unrolled: 2-line block ×3, first 2 shown]
	s_sub_u32 s62, s0, s14
	s_subb_u32 s63, s2, s15
	s_sub_u32 s64, s64, s14
	v_lshl_add_u32 v7, s11, 1, v7
	v_add_u32_e32 v5, s11, v5
	v_mov_b32_e32 v9, v10
	s_subb_u32 s65, s65, s15
	v_and_b32_e32 v22, -4, v20
	v_mov_b32_e32 v23, v21
	s_sub_u32 s66, s66, s14
	v_mov_b64_e32 v[10:11], v[8:9]
	s_mov_b32 s33, s20
	s_mov_b32 s72, s21
	;; [unrolled: 1-line block ×20, first 2 shown]
	s_mov_b64 s[50:51], 0
	s_subb_u32 s67, s67, s15
	v_mov_b32_e32 v24, 0
	v_mov_b64_e32 v[26:27], v[22:23]
	v_mov_b64_e32 v[8:9], v[6:7]
	v_mov_b64_e32 v[6:7], v[4:5]
	v_mov_b64_e32 v[4:5], v[2:3]
	s_branch .LBB26_11
.LBB26_9:                               ;   in Loop: Header=BB26_11 Depth=1
	s_or_b64 exec, exec, s[0:1]
.LBB26_10:                              ;   in Loop: Header=BB26_11 Depth=1
	v_ashrrev_i32_e32 v25, 31, v19
	v_and_b32_e32 v37, s76, v25
	v_and_b32_e32 v36, s75, v25
	v_ashrrev_i32_e32 v25, 31, v17
	v_and_b32_e32 v39, s74, v25
	v_and_b32_e32 v38, s73, v25
	;; [unrolled: 3-line block ×3, first 2 shown]
	v_ashrrev_i32_e32 v25, 31, v13
	v_lshl_add_u64 v[18:19], v[36:37], 0, v[18:19]
	v_and_b32_e32 v43, s21, v25
	v_and_b32_e32 v42, s20, v25
	v_mov_b32_e32 v25, s76
	v_sub_co_u32_e32 v36, vcc, s75, v18
	v_lshl_add_u64 v[16:17], v[38:39], 0, v[16:17]
	s_nop 0
	v_subb_co_u32_e32 v25, vcc, v25, v19, vcc
	v_mov_b32_e32 v37, s74
	v_sub_co_u32_e32 v38, vcc, s73, v16
	v_lshl_add_u64 v[14:15], v[40:41], 0, v[14:15]
	s_nop 0
	v_subb_co_u32_e32 v37, vcc, v37, v17, vcc
	;; [unrolled: 5-line block ×3, first 2 shown]
	v_mov_b32_e32 v41, s21
	v_sub_co_u32_e32 v42, vcc, s20, v12
	s_add_u32 s52, s52, s42
	s_nop 0
	v_subb_co_u32_e32 v41, vcc, v41, v13, vcc
	v_cmp_gt_i64_e32 vcc, s[30:31], v[12:13]
	s_addc_u32 s53, s53, s43
	v_lshl_add_u64 v[26:27], v[26:27], 0, -4
	v_cndmask_b32_e32 v42, v42, v12, vcc
	v_cndmask_b32_e32 v41, v41, v13, vcc
	v_cmp_gt_i64_e32 vcc, s[34:35], v[14:15]
	v_lshl_add_u64 v[10:11], v[10:11], 0, s[48:49]
	v_lshl_add_u64 v[8:9], v[8:9], 0, s[46:47]
	v_cndmask_b32_e32 v40, v40, v14, vcc
	v_cndmask_b32_e32 v39, v39, v15, vcc
	v_cmp_gt_i64_e32 vcc, s[36:37], v[16:17]
	v_lshl_add_u64 v[6:7], v[6:7], 0, s[44:45]
	v_lshl_add_u64 v[4:5], v[4:5], 0, s[42:43]
	v_cndmask_b32_e32 v14, v38, v16, vcc
	v_cndmask_b32_e32 v15, v37, v17, vcc
	v_cmp_gt_i64_e32 vcc, s[38:39], v[18:19]
	v_cndmask_b32_e64 v17, v39, 0, s[26:27]
	v_cndmask_b32_e64 v15, v15, 0, s[26:27]
	v_cndmask_b32_e32 v12, v36, v18, vcc
	v_mov_b64_e32 v[36:37], s[16:17]
	v_cndmask_b32_e32 v13, v25, v19, vcc
	v_mad_u64_u32 v[38:39], s[0:1], v28, s30, v[36:37]
	v_mul_lo_u32 v25, v28, s31
	v_mul_lo_u32 v28, v29, s30
	v_add3_u32 v39, v28, v39, v25
	v_mad_u64_u32 v[28:29], s[0:1], v30, s34, v[36:37]
	v_mul_lo_u32 v25, v30, s35
	v_mul_lo_u32 v30, v31, s34
	v_add3_u32 v29, v30, v29, v25
	v_mad_u64_u32 v[30:31], s[0:1], v32, s36, v[36:37]
	v_mul_lo_u32 v25, v32, s37
	v_mul_lo_u32 v32, v33, s36
	v_cndmask_b32_e64 v19, v41, 0, s[26:27]
	v_cndmask_b32_e64 v18, v42, 0, s[26:27]
	v_add3_u32 v31, v32, v31, v25
	v_mad_u64_u32 v[32:33], s[0:1], v34, s38, v[36:37]
	v_mul_lo_u32 v25, v34, s39
	v_mul_lo_u32 v34, v35, s38
	v_cndmask_b32_e64 v13, v13, 0, s[26:27]
	v_cndmask_b32_e64 v12, v12, 0, s[26:27]
	;; [unrolled: 1-line block ×4, first 2 shown]
	v_add3_u32 v33, v34, v33, v25
	v_lshl_add_u64 v[18:19], v[38:39], 0, v[18:19]
	v_lshl_add_u64 v[16:17], v[28:29], 0, v[16:17]
	;; [unrolled: 1-line block ×4, first 2 shown]
	global_load_ubyte v25, v[18:19], off
	global_load_ubyte v28, v[16:17], off
	global_load_ubyte v29, v[14:15], off
	global_load_ubyte v30, v[12:13], off
	v_lshl_add_u64 v[18:19], s[54:55], 0, v[0:1]
	s_add_u32 s54, s54, s42
	s_addc_u32 s55, s55, s43
	v_lshl_add_u64 v[16:17], s[56:57], 0, v[0:1]
	s_add_u32 s56, s56, s42
	s_addc_u32 s57, s57, s43
	;; [unrolled: 3-line block ×4, first 2 shown]
	s_add_u32 s62, s62, s42
	s_addc_u32 s63, s63, s43
	s_add_u32 s64, s64, s42
	s_addc_u32 s65, s65, s43
	;; [unrolled: 2-line block ×3, first 2 shown]
	v_cmp_eq_u64_e32 vcc, 0, v[26:27]
	s_or_b64 s[50:51], vcc, s[50:51]
	s_waitcnt vmcnt(3)
	global_store_byte v[12:13], v25, off
	s_waitcnt vmcnt(3)
	global_store_byte v[14:15], v28, off
	;; [unrolled: 2-line block ×4, first 2 shown]
	s_andn2_b64 exec, exec, s[50:51]
	s_cbranch_execz .LBB26_50
.LBB26_11:                              ; =>This Inner Loop Header: Depth=1
	v_or_b32_e32 v25, s9, v5
	v_cmp_ne_u64_e32 vcc, 0, v[24:25]
                                        ; implicit-def: $vgpr28_vgpr29
	s_and_saveexec_b64 s[0:1], vcc
	s_xor_b64 s[2:3], exec, s[0:1]
	s_cbranch_execz .LBB26_13
; %bb.12:                               ;   in Loop: Header=BB26_11 Depth=1
	s_ashr_i32 s4, s9, 31
	s_add_u32 s0, s8, s4
	s_mov_b32 s5, s4
	s_addc_u32 s1, s9, s4
	s_xor_b64 s[68:69], s[0:1], s[4:5]
	v_cvt_f32_u32_e32 v12, s68
	v_cvt_f32_u32_e32 v13, s69
	s_sub_u32 s5, 0, s68
	s_subb_u32 s70, 0, s69
	v_mov_b32_e32 v17, v24
	v_fmac_f32_e32 v12, 0x4f800000, v13
	v_rcp_f32_e32 v12, v12
	s_nop 0
	v_mul_f32_e32 v12, 0x5f7ffffc, v12
	v_mul_f32_e32 v13, 0x2f800000, v12
	v_trunc_f32_e32 v13, v13
	v_fmac_f32_e32 v12, 0xcf800000, v13
	v_cvt_u32_f32_e32 v13, v13
	v_cvt_u32_f32_e32 v12, v12
	v_readfirstlane_b32 s71, v13
	v_readfirstlane_b32 s0, v12
	s_mul_i32 s1, s5, s71
	s_mul_hi_u32 s78, s5, s0
	s_mul_i32 s77, s70, s0
	s_add_i32 s1, s78, s1
	s_add_i32 s1, s1, s77
	s_mul_i32 s79, s5, s0
	s_mul_i32 s78, s0, s1
	s_mul_hi_u32 s80, s0, s79
	s_mul_hi_u32 s77, s0, s1
	s_add_u32 s78, s80, s78
	s_addc_u32 s77, 0, s77
	s_mul_hi_u32 s81, s71, s79
	s_mul_i32 s79, s71, s79
	s_add_u32 s78, s78, s79
	s_mul_hi_u32 s80, s71, s1
	s_addc_u32 s77, s77, s81
	s_addc_u32 s78, s80, 0
	s_mul_i32 s1, s71, s1
	s_add_u32 s1, s77, s1
	s_addc_u32 s77, 0, s78
	s_add_u32 s78, s0, s1
	s_cselect_b64 s[0:1], -1, 0
	s_cmp_lg_u64 s[0:1], 0
	s_addc_u32 s71, s71, s77
	s_mul_i32 s0, s5, s71
	s_mul_hi_u32 s1, s5, s78
	s_add_i32 s0, s1, s0
	s_mul_i32 s70, s70, s78
	s_add_i32 s0, s0, s70
	s_mul_i32 s5, s5, s78
	s_mul_hi_u32 s70, s71, s5
	s_mul_i32 s77, s71, s5
	s_mul_i32 s80, s78, s0
	s_mul_hi_u32 s5, s78, s5
	s_mul_hi_u32 s79, s78, s0
	s_add_u32 s5, s5, s80
	s_addc_u32 s79, 0, s79
	s_add_u32 s5, s5, s77
	s_mul_hi_u32 s1, s71, s0
	s_addc_u32 s5, s79, s70
	s_addc_u32 s1, s1, 0
	s_mul_i32 s0, s71, s0
	s_add_u32 s0, s5, s0
	s_addc_u32 s5, 0, s1
	s_add_u32 s70, s78, s0
	v_ashrrev_i32_e32 v12, 31, v5
	s_cselect_b64 s[0:1], -1, 0
	v_mov_b32_e32 v13, v12
	s_cmp_lg_u64 s[0:1], 0
	v_lshl_add_u64 v[14:15], v[4:5], 0, v[12:13]
	s_addc_u32 s5, s71, s5
	v_xor_b32_e32 v25, v14, v12
	v_xor_b32_e32 v13, v15, v12
	v_mad_u64_u32 v[14:15], s[0:1], v25, s5, 0
	v_mul_hi_u32 v16, v25, s70
	v_lshl_add_u64 v[14:15], v[16:17], 0, v[14:15]
	v_mad_u64_u32 v[18:19], s[0:1], v13, s70, 0
	v_add_co_u32_e32 v14, vcc, v14, v18
	v_mad_u64_u32 v[16:17], s[0:1], v13, s5, 0
	s_nop 0
	v_addc_co_u32_e32 v14, vcc, v15, v19, vcc
	v_mov_b32_e32 v15, v24
	s_nop 0
	v_addc_co_u32_e32 v17, vcc, 0, v17, vcc
	v_lshl_add_u64 v[14:15], v[14:15], 0, v[16:17]
	v_mul_lo_u32 v18, s69, v14
	v_mul_lo_u32 v19, s68, v15
	v_mad_u64_u32 v[16:17], s[0:1], s68, v14, 0
	v_add3_u32 v28, v17, v19, v18
	v_sub_u32_e32 v17, v13, v28
	v_mov_b32_e32 v18, s69
	v_sub_co_u32_e32 v25, vcc, v25, v16
	v_xor_b32_e32 v12, s4, v12
	s_nop 0
	v_subb_co_u32_e64 v16, s[0:1], v17, v18, vcc
	v_subrev_co_u32_e64 v17, s[0:1], s68, v25
	v_subb_co_u32_e32 v13, vcc, v13, v28, vcc
	s_nop 0
	v_subbrev_co_u32_e64 v16, s[0:1], 0, v16, s[0:1]
	v_cmp_le_u32_e64 s[0:1], s69, v16
	v_cmp_le_u32_e32 vcc, s69, v13
	s_nop 0
	v_cndmask_b32_e64 v18, 0, -1, s[0:1]
	v_cmp_le_u32_e64 s[0:1], s68, v17
	s_nop 1
	v_cndmask_b32_e64 v17, 0, -1, s[0:1]
	v_cmp_eq_u32_e64 s[0:1], s69, v16
	s_nop 1
	v_cndmask_b32_e64 v29, v18, v17, s[0:1]
	v_lshl_add_u64 v[16:17], v[14:15], 0, 2
	v_lshl_add_u64 v[18:19], v[14:15], 0, 1
	v_cmp_ne_u32_e64 s[0:1], 0, v29
	s_nop 1
	v_cndmask_b32_e64 v17, v19, v17, s[0:1]
	v_cndmask_b32_e64 v19, 0, -1, vcc
	v_cmp_le_u32_e32 vcc, s68, v25
	s_nop 1
	v_cndmask_b32_e64 v25, 0, -1, vcc
	v_cmp_eq_u32_e32 vcc, s69, v13
	s_nop 1
	v_cndmask_b32_e32 v13, v19, v25, vcc
	v_cmp_ne_u32_e32 vcc, 0, v13
	s_nop 1
	v_cndmask_b32_e32 v13, v15, v17, vcc
	v_cndmask_b32_e64 v15, v18, v16, s[0:1]
	v_cndmask_b32_e32 v14, v14, v15, vcc
	v_xor_b32_e32 v14, v14, v12
	v_xor_b32_e32 v13, v13, v12
	v_sub_co_u32_e32 v28, vcc, v14, v12
	s_nop 1
	v_subb_co_u32_e32 v29, vcc, v13, v12, vcc
.LBB26_13:                              ;   in Loop: Header=BB26_11 Depth=1
	s_or_saveexec_b64 s[0:1], s[2:3]
	v_cvt_f32_u32_e32 v12, s8
	v_rcp_iflag_f32_e32 v12, v12
	s_xor_b64 exec, exec, s[0:1]
	s_cbranch_execz .LBB26_15
; %bb.14:                               ;   in Loop: Header=BB26_11 Depth=1
	v_mul_f32_e32 v13, 0x4f7ffffe, v12
	v_cvt_u32_f32_e32 v13, v13
	s_sub_i32 s2, 0, s8
	v_mov_b32_e32 v29, v24
	v_mul_lo_u32 v14, s2, v13
	v_mul_hi_u32 v14, v13, v14
	v_add_u32_e32 v13, v13, v14
	v_mul_hi_u32 v13, v4, v13
	v_mul_lo_u32 v14, v13, s8
	v_sub_u32_e32 v14, v4, v14
	v_add_u32_e32 v15, 1, v13
	v_subrev_u32_e32 v16, s8, v14
	v_cmp_le_u32_e32 vcc, s8, v14
	s_nop 1
	v_cndmask_b32_e32 v14, v14, v16, vcc
	v_cndmask_b32_e32 v13, v13, v15, vcc
	v_add_u32_e32 v15, 1, v13
	v_cmp_le_u32_e32 vcc, s8, v14
	s_nop 1
	v_cndmask_b32_e32 v28, v13, v15, vcc
.LBB26_15:                              ;   in Loop: Header=BB26_11 Depth=1
	s_or_b64 exec, exec, s[0:1]
	v_or_b32_e32 v25, s9, v7
	v_cmp_ne_u64_e32 vcc, 0, v[24:25]
                                        ; implicit-def: $vgpr30_vgpr31
	s_and_saveexec_b64 s[0:1], vcc
	s_xor_b64 s[2:3], exec, s[0:1]
	s_cbranch_execz .LBB26_17
; %bb.16:                               ;   in Loop: Header=BB26_11 Depth=1
	s_ashr_i32 s4, s9, 31
	s_add_u32 s0, s8, s4
	s_mov_b32 s5, s4
	s_addc_u32 s1, s9, s4
	s_xor_b64 s[68:69], s[0:1], s[4:5]
	v_cvt_f32_u32_e32 v13, s68
	v_cvt_f32_u32_e32 v14, s69
	s_sub_u32 s5, 0, s68
	s_subb_u32 s70, 0, s69
	v_mov_b32_e32 v19, v24
	v_fmac_f32_e32 v13, 0x4f800000, v14
	v_rcp_f32_e32 v13, v13
	s_nop 0
	v_mul_f32_e32 v13, 0x5f7ffffc, v13
	v_mul_f32_e32 v14, 0x2f800000, v13
	v_trunc_f32_e32 v14, v14
	v_fmac_f32_e32 v13, 0xcf800000, v14
	v_cvt_u32_f32_e32 v14, v14
	v_cvt_u32_f32_e32 v13, v13
	v_readfirstlane_b32 s71, v14
	v_readfirstlane_b32 s0, v13
	s_mul_i32 s1, s5, s71
	s_mul_hi_u32 s78, s5, s0
	s_mul_i32 s77, s70, s0
	s_add_i32 s1, s78, s1
	s_add_i32 s1, s1, s77
	s_mul_i32 s79, s5, s0
	s_mul_i32 s78, s0, s1
	s_mul_hi_u32 s80, s0, s79
	s_mul_hi_u32 s77, s0, s1
	s_add_u32 s78, s80, s78
	s_addc_u32 s77, 0, s77
	s_mul_hi_u32 s81, s71, s79
	s_mul_i32 s79, s71, s79
	s_add_u32 s78, s78, s79
	s_mul_hi_u32 s80, s71, s1
	s_addc_u32 s77, s77, s81
	s_addc_u32 s78, s80, 0
	s_mul_i32 s1, s71, s1
	s_add_u32 s1, s77, s1
	s_addc_u32 s77, 0, s78
	s_add_u32 s78, s0, s1
	s_cselect_b64 s[0:1], -1, 0
	s_cmp_lg_u64 s[0:1], 0
	s_addc_u32 s71, s71, s77
	s_mul_i32 s0, s5, s71
	s_mul_hi_u32 s1, s5, s78
	s_add_i32 s0, s1, s0
	s_mul_i32 s70, s70, s78
	s_add_i32 s0, s0, s70
	s_mul_i32 s5, s5, s78
	s_mul_hi_u32 s70, s71, s5
	s_mul_i32 s77, s71, s5
	s_mul_i32 s80, s78, s0
	s_mul_hi_u32 s5, s78, s5
	s_mul_hi_u32 s79, s78, s0
	s_add_u32 s5, s5, s80
	s_addc_u32 s79, 0, s79
	s_add_u32 s5, s5, s77
	s_mul_hi_u32 s1, s71, s0
	s_addc_u32 s5, s79, s70
	s_addc_u32 s1, s1, 0
	s_mul_i32 s0, s71, s0
	s_add_u32 s0, s5, s0
	s_addc_u32 s5, 0, s1
	s_add_u32 s70, s78, s0
	v_ashrrev_i32_e32 v14, 31, v7
	s_cselect_b64 s[0:1], -1, 0
	v_mov_b32_e32 v15, v14
	s_cmp_lg_u64 s[0:1], 0
	v_lshl_add_u64 v[16:17], v[6:7], 0, v[14:15]
	s_addc_u32 s5, s71, s5
	v_xor_b32_e32 v15, v16, v14
	v_xor_b32_e32 v13, v17, v14
	v_mad_u64_u32 v[16:17], s[0:1], v15, s5, 0
	v_mul_hi_u32 v18, v15, s70
	v_lshl_add_u64 v[16:17], v[18:19], 0, v[16:17]
	v_mad_u64_u32 v[30:31], s[0:1], v13, s70, 0
	v_add_co_u32_e32 v16, vcc, v16, v30
	v_mad_u64_u32 v[18:19], s[0:1], v13, s5, 0
	s_nop 0
	v_addc_co_u32_e32 v16, vcc, v17, v31, vcc
	v_mov_b32_e32 v17, v24
	s_nop 0
	v_addc_co_u32_e32 v19, vcc, 0, v19, vcc
	v_lshl_add_u64 v[16:17], v[16:17], 0, v[18:19]
	v_mul_lo_u32 v25, s69, v16
	v_mul_lo_u32 v30, s68, v17
	v_mad_u64_u32 v[18:19], s[0:1], s68, v16, 0
	v_add3_u32 v25, v19, v30, v25
	v_sub_u32_e32 v19, v13, v25
	v_mov_b32_e32 v30, s69
	v_sub_co_u32_e32 v15, vcc, v15, v18
	v_xor_b32_e32 v14, s4, v14
	s_nop 0
	v_subb_co_u32_e64 v18, s[0:1], v19, v30, vcc
	v_subrev_co_u32_e64 v19, s[0:1], s68, v15
	v_subb_co_u32_e32 v13, vcc, v13, v25, vcc
	s_nop 0
	v_subbrev_co_u32_e64 v18, s[0:1], 0, v18, s[0:1]
	v_cmp_le_u32_e64 s[0:1], s69, v18
	v_cmp_le_u32_e32 vcc, s69, v13
	s_nop 0
	v_cndmask_b32_e64 v30, 0, -1, s[0:1]
	v_cmp_le_u32_e64 s[0:1], s68, v19
	v_cndmask_b32_e64 v25, 0, -1, vcc
	v_cmp_le_u32_e32 vcc, s68, v15
	v_cndmask_b32_e64 v19, 0, -1, s[0:1]
	v_cmp_eq_u32_e64 s[0:1], s69, v18
	v_cndmask_b32_e64 v15, 0, -1, vcc
	v_cmp_eq_u32_e32 vcc, s69, v13
	v_cndmask_b32_e64 v32, v30, v19, s[0:1]
	v_lshl_add_u64 v[18:19], v[16:17], 0, 2
	v_lshl_add_u64 v[30:31], v[16:17], 0, 1
	v_cmp_ne_u32_e64 s[0:1], 0, v32
	v_cndmask_b32_e32 v13, v25, v15, vcc
	v_cmp_ne_u32_e32 vcc, 0, v13
	v_cndmask_b32_e64 v15, v30, v18, s[0:1]
	v_cndmask_b32_e64 v19, v31, v19, s[0:1]
	v_cndmask_b32_e32 v15, v16, v15, vcc
	v_cndmask_b32_e32 v13, v17, v19, vcc
	v_xor_b32_e32 v15, v15, v14
	v_xor_b32_e32 v13, v13, v14
	v_sub_co_u32_e32 v30, vcc, v15, v14
	s_nop 1
	v_subb_co_u32_e32 v31, vcc, v13, v14, vcc
.LBB26_17:                              ;   in Loop: Header=BB26_11 Depth=1
	s_andn2_saveexec_b64 s[0:1], s[2:3]
	s_cbranch_execz .LBB26_19
; %bb.18:                               ;   in Loop: Header=BB26_11 Depth=1
	v_mul_f32_e32 v13, 0x4f7ffffe, v12
	v_cvt_u32_f32_e32 v13, v13
	s_sub_i32 s2, 0, s8
	v_mov_b32_e32 v31, v24
	v_mul_lo_u32 v14, s2, v13
	v_mul_hi_u32 v14, v13, v14
	v_add_u32_e32 v13, v13, v14
	v_mul_hi_u32 v13, v6, v13
	v_mul_lo_u32 v14, v13, s8
	v_sub_u32_e32 v14, v6, v14
	v_add_u32_e32 v15, 1, v13
	v_subrev_u32_e32 v16, s8, v14
	v_cmp_le_u32_e32 vcc, s8, v14
	s_nop 1
	v_cndmask_b32_e32 v14, v14, v16, vcc
	v_cndmask_b32_e32 v13, v13, v15, vcc
	v_add_u32_e32 v15, 1, v13
	v_cmp_le_u32_e32 vcc, s8, v14
	s_nop 1
	v_cndmask_b32_e32 v30, v13, v15, vcc
.LBB26_19:                              ;   in Loop: Header=BB26_11 Depth=1
	s_or_b64 exec, exec, s[0:1]
	v_or_b32_e32 v25, s9, v9
	v_cmp_ne_u64_e32 vcc, 0, v[24:25]
                                        ; implicit-def: $vgpr32_vgpr33
	s_and_saveexec_b64 s[0:1], vcc
	s_xor_b64 s[2:3], exec, s[0:1]
	s_cbranch_execz .LBB26_21
; %bb.20:                               ;   in Loop: Header=BB26_11 Depth=1
	s_ashr_i32 s4, s9, 31
	s_add_u32 s0, s8, s4
	s_mov_b32 s5, s4
	s_addc_u32 s1, s9, s4
	s_xor_b64 s[68:69], s[0:1], s[4:5]
	v_cvt_f32_u32_e32 v13, s68
	v_cvt_f32_u32_e32 v14, s69
	s_sub_u32 s5, 0, s68
	s_subb_u32 s70, 0, s69
	v_mov_b32_e32 v19, v24
	v_fmac_f32_e32 v13, 0x4f800000, v14
	v_rcp_f32_e32 v13, v13
	s_nop 0
	v_mul_f32_e32 v13, 0x5f7ffffc, v13
	v_mul_f32_e32 v14, 0x2f800000, v13
	v_trunc_f32_e32 v14, v14
	v_fmac_f32_e32 v13, 0xcf800000, v14
	v_cvt_u32_f32_e32 v14, v14
	v_cvt_u32_f32_e32 v13, v13
	v_readfirstlane_b32 s71, v14
	v_readfirstlane_b32 s0, v13
	s_mul_i32 s1, s5, s71
	s_mul_hi_u32 s78, s5, s0
	s_mul_i32 s77, s70, s0
	s_add_i32 s1, s78, s1
	s_add_i32 s1, s1, s77
	s_mul_i32 s79, s5, s0
	s_mul_i32 s78, s0, s1
	s_mul_hi_u32 s80, s0, s79
	s_mul_hi_u32 s77, s0, s1
	s_add_u32 s78, s80, s78
	s_addc_u32 s77, 0, s77
	s_mul_hi_u32 s81, s71, s79
	s_mul_i32 s79, s71, s79
	s_add_u32 s78, s78, s79
	s_mul_hi_u32 s80, s71, s1
	s_addc_u32 s77, s77, s81
	s_addc_u32 s78, s80, 0
	s_mul_i32 s1, s71, s1
	s_add_u32 s1, s77, s1
	s_addc_u32 s77, 0, s78
	s_add_u32 s78, s0, s1
	s_cselect_b64 s[0:1], -1, 0
	s_cmp_lg_u64 s[0:1], 0
	s_addc_u32 s71, s71, s77
	s_mul_i32 s0, s5, s71
	s_mul_hi_u32 s1, s5, s78
	s_add_i32 s0, s1, s0
	s_mul_i32 s70, s70, s78
	s_add_i32 s0, s0, s70
	s_mul_i32 s5, s5, s78
	s_mul_hi_u32 s70, s71, s5
	s_mul_i32 s77, s71, s5
	s_mul_i32 s80, s78, s0
	s_mul_hi_u32 s5, s78, s5
	s_mul_hi_u32 s79, s78, s0
	s_add_u32 s5, s5, s80
	s_addc_u32 s79, 0, s79
	s_add_u32 s5, s5, s77
	s_mul_hi_u32 s1, s71, s0
	s_addc_u32 s5, s79, s70
	s_addc_u32 s1, s1, 0
	s_mul_i32 s0, s71, s0
	s_add_u32 s0, s5, s0
	s_addc_u32 s5, 0, s1
	s_add_u32 s70, s78, s0
	v_ashrrev_i32_e32 v14, 31, v9
	s_cselect_b64 s[0:1], -1, 0
	v_mov_b32_e32 v15, v14
	s_cmp_lg_u64 s[0:1], 0
	v_lshl_add_u64 v[16:17], v[8:9], 0, v[14:15]
	s_addc_u32 s5, s71, s5
	v_xor_b32_e32 v15, v16, v14
	v_xor_b32_e32 v13, v17, v14
	v_mad_u64_u32 v[16:17], s[0:1], v15, s5, 0
	v_mul_hi_u32 v18, v15, s70
	v_lshl_add_u64 v[16:17], v[18:19], 0, v[16:17]
	v_mad_u64_u32 v[32:33], s[0:1], v13, s70, 0
	v_add_co_u32_e32 v16, vcc, v16, v32
	v_mad_u64_u32 v[18:19], s[0:1], v13, s5, 0
	s_nop 0
	v_addc_co_u32_e32 v16, vcc, v17, v33, vcc
	v_mov_b32_e32 v17, v24
	s_nop 0
	v_addc_co_u32_e32 v19, vcc, 0, v19, vcc
	v_lshl_add_u64 v[16:17], v[16:17], 0, v[18:19]
	v_mul_lo_u32 v25, s69, v16
	v_mul_lo_u32 v32, s68, v17
	v_mad_u64_u32 v[18:19], s[0:1], s68, v16, 0
	v_add3_u32 v25, v19, v32, v25
	v_sub_u32_e32 v19, v13, v25
	v_mov_b32_e32 v32, s69
	v_sub_co_u32_e32 v15, vcc, v15, v18
	v_xor_b32_e32 v14, s4, v14
	s_nop 0
	v_subb_co_u32_e64 v18, s[0:1], v19, v32, vcc
	v_subrev_co_u32_e64 v19, s[0:1], s68, v15
	v_subb_co_u32_e32 v13, vcc, v13, v25, vcc
	s_nop 0
	v_subbrev_co_u32_e64 v18, s[0:1], 0, v18, s[0:1]
	v_cmp_le_u32_e64 s[0:1], s69, v18
	v_cmp_le_u32_e32 vcc, s69, v13
	s_nop 0
	v_cndmask_b32_e64 v32, 0, -1, s[0:1]
	v_cmp_le_u32_e64 s[0:1], s68, v19
	v_cndmask_b32_e64 v25, 0, -1, vcc
	v_cmp_le_u32_e32 vcc, s68, v15
	v_cndmask_b32_e64 v19, 0, -1, s[0:1]
	v_cmp_eq_u32_e64 s[0:1], s69, v18
	v_cndmask_b32_e64 v15, 0, -1, vcc
	v_cmp_eq_u32_e32 vcc, s69, v13
	v_cndmask_b32_e64 v34, v32, v19, s[0:1]
	v_lshl_add_u64 v[18:19], v[16:17], 0, 2
	v_lshl_add_u64 v[32:33], v[16:17], 0, 1
	v_cmp_ne_u32_e64 s[0:1], 0, v34
	v_cndmask_b32_e32 v13, v25, v15, vcc
	v_cmp_ne_u32_e32 vcc, 0, v13
	v_cndmask_b32_e64 v15, v32, v18, s[0:1]
	v_cndmask_b32_e64 v19, v33, v19, s[0:1]
	v_cndmask_b32_e32 v15, v16, v15, vcc
	v_cndmask_b32_e32 v13, v17, v19, vcc
	v_xor_b32_e32 v15, v15, v14
	v_xor_b32_e32 v13, v13, v14
	v_sub_co_u32_e32 v32, vcc, v15, v14
	s_nop 1
	v_subb_co_u32_e32 v33, vcc, v13, v14, vcc
.LBB26_21:                              ;   in Loop: Header=BB26_11 Depth=1
	s_andn2_saveexec_b64 s[0:1], s[2:3]
	s_cbranch_execz .LBB26_23
; %bb.22:                               ;   in Loop: Header=BB26_11 Depth=1
	v_mul_f32_e32 v13, 0x4f7ffffe, v12
	v_cvt_u32_f32_e32 v13, v13
	s_sub_i32 s2, 0, s8
	v_mov_b32_e32 v33, v24
	v_mul_lo_u32 v14, s2, v13
	v_mul_hi_u32 v14, v13, v14
	v_add_u32_e32 v13, v13, v14
	v_mul_hi_u32 v13, v8, v13
	v_mul_lo_u32 v14, v13, s8
	v_sub_u32_e32 v14, v8, v14
	v_add_u32_e32 v15, 1, v13
	v_subrev_u32_e32 v16, s8, v14
	v_cmp_le_u32_e32 vcc, s8, v14
	s_nop 1
	v_cndmask_b32_e32 v14, v14, v16, vcc
	v_cndmask_b32_e32 v13, v13, v15, vcc
	v_add_u32_e32 v15, 1, v13
	v_cmp_le_u32_e32 vcc, s8, v14
	s_nop 1
	v_cndmask_b32_e32 v32, v13, v15, vcc
.LBB26_23:                              ;   in Loop: Header=BB26_11 Depth=1
	s_or_b64 exec, exec, s[0:1]
	v_or_b32_e32 v25, s9, v11
	v_cmp_ne_u64_e32 vcc, 0, v[24:25]
                                        ; implicit-def: $vgpr34_vgpr35
	s_and_saveexec_b64 s[0:1], vcc
	s_xor_b64 s[2:3], exec, s[0:1]
	s_cbranch_execz .LBB26_25
; %bb.24:                               ;   in Loop: Header=BB26_11 Depth=1
	s_ashr_i32 s4, s9, 31
	s_add_u32 s0, s8, s4
	s_mov_b32 s5, s4
	s_addc_u32 s1, s9, s4
	s_xor_b64 s[68:69], s[0:1], s[4:5]
	v_cvt_f32_u32_e32 v12, s68
	v_cvt_f32_u32_e32 v13, s69
	s_sub_u32 s5, 0, s68
	s_subb_u32 s70, 0, s69
	v_mov_b32_e32 v17, v24
	v_fmac_f32_e32 v12, 0x4f800000, v13
	v_rcp_f32_e32 v12, v12
	s_nop 0
	v_mul_f32_e32 v12, 0x5f7ffffc, v12
	v_mul_f32_e32 v13, 0x2f800000, v12
	v_trunc_f32_e32 v13, v13
	v_fmac_f32_e32 v12, 0xcf800000, v13
	v_cvt_u32_f32_e32 v13, v13
	v_cvt_u32_f32_e32 v12, v12
	v_readfirstlane_b32 s71, v13
	v_readfirstlane_b32 s0, v12
	s_mul_i32 s1, s5, s71
	s_mul_hi_u32 s78, s5, s0
	s_mul_i32 s77, s70, s0
	s_add_i32 s1, s78, s1
	s_add_i32 s1, s1, s77
	s_mul_i32 s79, s5, s0
	s_mul_i32 s78, s0, s1
	s_mul_hi_u32 s80, s0, s79
	s_mul_hi_u32 s77, s0, s1
	s_add_u32 s78, s80, s78
	s_addc_u32 s77, 0, s77
	s_mul_hi_u32 s81, s71, s79
	s_mul_i32 s79, s71, s79
	s_add_u32 s78, s78, s79
	s_mul_hi_u32 s80, s71, s1
	s_addc_u32 s77, s77, s81
	s_addc_u32 s78, s80, 0
	s_mul_i32 s1, s71, s1
	s_add_u32 s1, s77, s1
	s_addc_u32 s77, 0, s78
	s_add_u32 s78, s0, s1
	s_cselect_b64 s[0:1], -1, 0
	s_cmp_lg_u64 s[0:1], 0
	s_addc_u32 s71, s71, s77
	s_mul_i32 s0, s5, s71
	s_mul_hi_u32 s1, s5, s78
	s_add_i32 s0, s1, s0
	s_mul_i32 s70, s70, s78
	s_add_i32 s0, s0, s70
	s_mul_i32 s5, s5, s78
	s_mul_hi_u32 s70, s71, s5
	s_mul_i32 s77, s71, s5
	s_mul_i32 s80, s78, s0
	s_mul_hi_u32 s5, s78, s5
	s_mul_hi_u32 s79, s78, s0
	s_add_u32 s5, s5, s80
	s_addc_u32 s79, 0, s79
	s_add_u32 s5, s5, s77
	s_mul_hi_u32 s1, s71, s0
	s_addc_u32 s5, s79, s70
	s_addc_u32 s1, s1, 0
	s_mul_i32 s0, s71, s0
	s_add_u32 s0, s5, s0
	s_addc_u32 s5, 0, s1
	s_add_u32 s70, s78, s0
	v_ashrrev_i32_e32 v12, 31, v11
	s_cselect_b64 s[0:1], -1, 0
	v_mov_b32_e32 v13, v12
	s_cmp_lg_u64 s[0:1], 0
	v_lshl_add_u64 v[14:15], v[10:11], 0, v[12:13]
	s_addc_u32 s5, s71, s5
	v_xor_b32_e32 v25, v14, v12
	v_xor_b32_e32 v13, v15, v12
	v_mad_u64_u32 v[14:15], s[0:1], v25, s5, 0
	v_mul_hi_u32 v16, v25, s70
	v_lshl_add_u64 v[14:15], v[16:17], 0, v[14:15]
	v_mad_u64_u32 v[18:19], s[0:1], v13, s70, 0
	v_add_co_u32_e32 v14, vcc, v14, v18
	v_mad_u64_u32 v[16:17], s[0:1], v13, s5, 0
	s_nop 0
	v_addc_co_u32_e32 v14, vcc, v15, v19, vcc
	v_mov_b32_e32 v15, v24
	s_nop 0
	v_addc_co_u32_e32 v17, vcc, 0, v17, vcc
	v_lshl_add_u64 v[14:15], v[14:15], 0, v[16:17]
	v_mul_lo_u32 v18, s69, v14
	v_mul_lo_u32 v19, s68, v15
	v_mad_u64_u32 v[16:17], s[0:1], s68, v14, 0
	v_add3_u32 v34, v17, v19, v18
	v_sub_u32_e32 v17, v13, v34
	v_mov_b32_e32 v18, s69
	v_sub_co_u32_e32 v25, vcc, v25, v16
	v_xor_b32_e32 v12, s4, v12
	s_nop 0
	v_subb_co_u32_e64 v16, s[0:1], v17, v18, vcc
	v_subrev_co_u32_e64 v17, s[0:1], s68, v25
	v_subb_co_u32_e32 v13, vcc, v13, v34, vcc
	s_nop 0
	v_subbrev_co_u32_e64 v16, s[0:1], 0, v16, s[0:1]
	v_cmp_le_u32_e64 s[0:1], s69, v16
	v_cmp_le_u32_e32 vcc, s69, v13
	s_nop 0
	v_cndmask_b32_e64 v18, 0, -1, s[0:1]
	v_cmp_le_u32_e64 s[0:1], s68, v17
	s_nop 1
	v_cndmask_b32_e64 v17, 0, -1, s[0:1]
	v_cmp_eq_u32_e64 s[0:1], s69, v16
	s_nop 1
	v_cndmask_b32_e64 v35, v18, v17, s[0:1]
	v_lshl_add_u64 v[16:17], v[14:15], 0, 2
	v_lshl_add_u64 v[18:19], v[14:15], 0, 1
	v_cmp_ne_u32_e64 s[0:1], 0, v35
	s_nop 1
	v_cndmask_b32_e64 v17, v19, v17, s[0:1]
	v_cndmask_b32_e64 v19, 0, -1, vcc
	v_cmp_le_u32_e32 vcc, s68, v25
	s_nop 1
	v_cndmask_b32_e64 v25, 0, -1, vcc
	v_cmp_eq_u32_e32 vcc, s69, v13
	s_nop 1
	v_cndmask_b32_e32 v13, v19, v25, vcc
	v_cmp_ne_u32_e32 vcc, 0, v13
	s_nop 1
	v_cndmask_b32_e32 v13, v15, v17, vcc
	v_cndmask_b32_e64 v15, v18, v16, s[0:1]
	v_cndmask_b32_e32 v14, v14, v15, vcc
	v_xor_b32_e32 v14, v14, v12
	v_xor_b32_e32 v13, v13, v12
	v_sub_co_u32_e32 v34, vcc, v14, v12
	s_nop 1
	v_subb_co_u32_e32 v35, vcc, v13, v12, vcc
                                        ; implicit-def: $vgpr12
.LBB26_25:                              ;   in Loop: Header=BB26_11 Depth=1
	s_andn2_saveexec_b64 s[0:1], s[2:3]
	s_cbranch_execz .LBB26_27
; %bb.26:                               ;   in Loop: Header=BB26_11 Depth=1
	v_mul_f32_e32 v12, 0x4f7ffffe, v12
	v_cvt_u32_f32_e32 v12, v12
	s_sub_i32 s2, 0, s8
	v_mov_b32_e32 v35, v24
	v_mul_lo_u32 v13, s2, v12
	v_mul_hi_u32 v13, v12, v13
	v_add_u32_e32 v12, v12, v13
	v_mul_hi_u32 v12, v10, v12
	v_mul_lo_u32 v13, v12, s8
	v_sub_u32_e32 v13, v10, v13
	v_add_u32_e32 v14, 1, v12
	v_subrev_u32_e32 v15, s8, v13
	v_cmp_le_u32_e32 vcc, s8, v13
	s_nop 1
	v_cndmask_b32_e32 v13, v13, v15, vcc
	v_cndmask_b32_e32 v12, v12, v14, vcc
	v_add_u32_e32 v14, 1, v12
	v_cmp_le_u32_e32 vcc, s8, v13
	s_nop 1
	v_cndmask_b32_e32 v34, v12, v14, vcc
.LBB26_27:                              ;   in Loop: Header=BB26_11 Depth=1
	s_or_b64 exec, exec, s[0:1]
	v_cndmask_b32_e64 v12, 0, 1, s[28:29]
	v_cmp_ne_u32_e64 s[0:1], 1, v12
	s_andn2_b64 vcc, exec, s[28:29]
                                        ; implicit-def: $vgpr12_vgpr13_vgpr14_vgpr15_vgpr16_vgpr17_vgpr18_vgpr19
	s_cbranch_vccz .LBB26_31
; %bb.28:                               ;   in Loop: Header=BB26_11 Depth=1
	s_and_b64 vcc, exec, s[0:1]
	s_cbranch_vccz .LBB26_36
.LBB26_29:                              ;   in Loop: Header=BB26_11 Depth=1
	s_and_b64 vcc, exec, s[0:1]
	s_cbranch_vccz .LBB26_41
.LBB26_30:                              ;   in Loop: Header=BB26_11 Depth=1
	s_and_b64 vcc, exec, s[0:1]
	s_cbranch_vccnz .LBB26_10
	s_branch .LBB26_46
.LBB26_31:                              ;   in Loop: Header=BB26_11 Depth=1
	v_lshl_add_u64 v[12:13], v[0:1], 0, s[52:53]
	v_mul_lo_u32 v16, s40, v29
	v_mul_lo_u32 v17, s41, v28
	v_mad_u64_u32 v[14:15], s[2:3], s40, v28, v[12:13]
	v_add3_u32 v15, v17, v15, v16
	v_or_b32_e32 v25, s21, v15
	v_cmp_ne_u64_e32 vcc, 0, v[24:25]
                                        ; implicit-def: $vgpr12_vgpr13
	s_and_saveexec_b64 s[2:3], vcc
	s_xor_b64 s[68:69], exec, s[2:3]
	s_cbranch_execz .LBB26_33
; %bb.32:                               ;   in Loop: Header=BB26_11 Depth=1
	s_ashr_i32 s2, s21, 31
	s_add_u32 s4, s20, s2
	s_mov_b32 s3, s2
	s_addc_u32 s5, s21, s2
	s_xor_b64 s[70:71], s[4:5], s[2:3]
	v_cvt_f32_u32_e32 v12, s70
	v_cvt_f32_u32_e32 v13, s71
	s_sub_u32 s4, 0, s70
	s_subb_u32 s5, 0, s71
	v_ashrrev_i32_e32 v16, 31, v15
	v_fmac_f32_e32 v12, 0x4f800000, v13
	v_rcp_f32_e32 v12, v12
	v_mov_b32_e32 v17, v16
	v_mul_f32_e32 v12, 0x5f7ffffc, v12
	v_mul_f32_e32 v13, 0x2f800000, v12
	v_trunc_f32_e32 v13, v13
	v_fmac_f32_e32 v12, 0xcf800000, v13
	v_cvt_u32_f32_e32 v13, v13
	v_cvt_u32_f32_e32 v12, v12
	v_readfirstlane_b32 s77, v13
	v_readfirstlane_b32 s2, v12
	s_mul_i32 s3, s4, s77
	s_mul_hi_u32 s79, s4, s2
	s_mul_i32 s78, s5, s2
	s_add_i32 s3, s79, s3
	s_add_i32 s3, s3, s78
	s_mul_i32 s80, s4, s2
	s_mul_i32 s79, s2, s3
	s_mul_hi_u32 s81, s2, s80
	s_mul_hi_u32 s78, s2, s3
	s_add_u32 s79, s81, s79
	s_addc_u32 s78, 0, s78
	s_mul_hi_u32 s82, s77, s80
	s_mul_i32 s80, s77, s80
	s_add_u32 s79, s79, s80
	s_mul_hi_u32 s81, s77, s3
	s_addc_u32 s78, s78, s82
	s_addc_u32 s79, s81, 0
	s_mul_i32 s3, s77, s3
	s_add_u32 s3, s78, s3
	s_addc_u32 s78, 0, s79
	s_add_u32 s79, s2, s3
	s_cselect_b64 s[2:3], -1, 0
	s_cmp_lg_u64 s[2:3], 0
	s_addc_u32 s77, s77, s78
	s_mul_i32 s2, s4, s77
	s_mul_hi_u32 s3, s4, s79
	s_add_i32 s2, s3, s2
	s_mul_i32 s5, s5, s79
	s_add_i32 s2, s2, s5
	s_mul_i32 s4, s4, s79
	s_mul_hi_u32 s5, s77, s4
	s_mul_i32 s78, s77, s4
	s_mul_i32 s81, s79, s2
	s_mul_hi_u32 s4, s79, s4
	s_mul_hi_u32 s80, s79, s2
	s_add_u32 s4, s4, s81
	s_addc_u32 s80, 0, s80
	s_add_u32 s4, s4, s78
	s_mul_hi_u32 s3, s77, s2
	s_addc_u32 s4, s80, s5
	s_addc_u32 s3, s3, 0
	s_mul_i32 s2, s77, s2
	s_add_u32 s2, s4, s2
	s_addc_u32 s4, 0, s3
	s_add_u32 s5, s79, s2
	s_cselect_b64 s[2:3], -1, 0
	s_cmp_lg_u64 s[2:3], 0
	v_lshl_add_u64 v[12:13], v[14:15], 0, v[16:17]
	s_addc_u32 s4, s77, s4
	v_xor_b32_e32 v25, v12, v16
	v_xor_b32_e32 v17, v13, v16
	v_mad_u64_u32 v[12:13], s[2:3], v25, s4, 0
	v_mul_hi_u32 v14, v25, s5
	v_mov_b32_e32 v15, v24
	v_lshl_add_u64 v[12:13], v[14:15], 0, v[12:13]
	v_mad_u64_u32 v[18:19], s[2:3], v17, s5, 0
	v_add_co_u32_e32 v12, vcc, v12, v18
	v_mad_u64_u32 v[14:15], s[2:3], v17, s4, 0
	s_nop 0
	v_addc_co_u32_e32 v12, vcc, v13, v19, vcc
	v_mov_b32_e32 v13, v24
	s_nop 0
	v_addc_co_u32_e32 v15, vcc, 0, v15, vcc
	v_lshl_add_u64 v[12:13], v[12:13], 0, v[14:15]
	v_mul_lo_u32 v14, s71, v12
	v_mul_lo_u32 v15, s70, v13
	v_mad_u64_u32 v[12:13], s[2:3], s70, v12, 0
	v_add3_u32 v13, v13, v15, v14
	v_sub_u32_e32 v14, v17, v13
	v_mov_b32_e32 v15, s71
	v_sub_co_u32_e32 v12, vcc, v25, v12
	s_nop 1
	v_subb_co_u32_e64 v14, s[2:3], v14, v15, vcc
	v_subrev_co_u32_e64 v18, s[2:3], s70, v12
	v_subb_co_u32_e32 v13, vcc, v17, v13, vcc
	s_nop 0
	v_subbrev_co_u32_e64 v19, s[4:5], 0, v14, s[2:3]
	v_cmp_le_u32_e64 s[4:5], s71, v19
	v_subb_co_u32_e64 v14, s[2:3], v14, v15, s[2:3]
	s_nop 0
	v_cndmask_b32_e64 v25, 0, -1, s[4:5]
	v_cmp_le_u32_e64 s[4:5], s70, v18
	v_subrev_co_u32_e64 v15, s[2:3], s70, v18
	s_nop 0
	v_cndmask_b32_e64 v36, 0, -1, s[4:5]
	v_cmp_eq_u32_e64 s[4:5], s71, v19
	v_subbrev_co_u32_e64 v14, s[2:3], 0, v14, s[2:3]
	s_nop 0
	v_cndmask_b32_e64 v25, v25, v36, s[4:5]
	v_cmp_le_u32_e32 vcc, s71, v13
	v_cmp_ne_u32_e64 s[2:3], 0, v25
	s_nop 0
	v_cndmask_b32_e64 v17, 0, -1, vcc
	v_cmp_le_u32_e32 vcc, s70, v12
	v_cndmask_b32_e64 v14, v19, v14, s[2:3]
	s_nop 0
	v_cndmask_b32_e64 v19, 0, -1, vcc
	v_cmp_eq_u32_e32 vcc, s71, v13
	s_nop 1
	v_cndmask_b32_e32 v17, v17, v19, vcc
	v_cmp_ne_u32_e32 vcc, 0, v17
	s_nop 1
	v_cndmask_b32_e32 v13, v13, v14, vcc
	v_cndmask_b32_e64 v14, v18, v15, s[2:3]
	v_cndmask_b32_e32 v12, v12, v14, vcc
	v_xor_b32_e32 v12, v12, v16
	v_xor_b32_e32 v13, v13, v16
	v_sub_co_u32_e32 v12, vcc, v12, v16
                                        ; implicit-def: $vgpr14_vgpr15
	s_nop 1
	v_subb_co_u32_e32 v13, vcc, v13, v16, vcc
.LBB26_33:                              ;   in Loop: Header=BB26_11 Depth=1
	s_andn2_saveexec_b64 s[2:3], s[68:69]
	s_cbranch_execz .LBB26_35
; %bb.34:                               ;   in Loop: Header=BB26_11 Depth=1
	v_cvt_f32_u32_e32 v12, s20
	s_sub_i32 s4, 0, s20
	v_rcp_iflag_f32_e32 v12, v12
	s_nop 0
	v_mul_f32_e32 v12, 0x4f7ffffe, v12
	v_cvt_u32_f32_e32 v12, v12
	v_mul_lo_u32 v13, s4, v12
	v_mul_hi_u32 v13, v12, v13
	v_add_u32_e32 v12, v12, v13
	v_mul_hi_u32 v12, v14, v12
	v_mul_lo_u32 v12, v12, s20
	v_sub_u32_e32 v12, v14, v12
	v_subrev_u32_e32 v13, s20, v12
	v_cmp_le_u32_e32 vcc, s20, v12
	s_nop 1
	v_cndmask_b32_e32 v12, v12, v13, vcc
	v_subrev_u32_e32 v13, s20, v12
	v_cmp_le_u32_e32 vcc, s20, v12
	s_nop 1
	v_cndmask_b32_e32 v12, v12, v13, vcc
	v_mov_b32_e32 v13, v24
.LBB26_35:                              ;   in Loop: Header=BB26_11 Depth=1
	s_or_b64 exec, exec, s[2:3]
	s_and_b64 vcc, exec, s[0:1]
	s_cbranch_vccnz .LBB26_29
.LBB26_36:                              ;   in Loop: Header=BB26_11 Depth=1
	v_lshl_add_u64 v[14:15], v[0:1], 0, s[66:67]
	v_mul_lo_u32 v25, s40, v31
	v_mul_lo_u32 v38, s41, v30
	v_mad_u64_u32 v[36:37], s[2:3], s40, v30, v[14:15]
	v_add3_u32 v37, v38, v37, v25
	v_or_b32_e32 v25, s21, v37
	v_cmp_ne_u64_e32 vcc, 0, v[24:25]
	s_and_saveexec_b64 s[2:3], vcc
	s_xor_b64 s[68:69], exec, s[2:3]
	s_cbranch_execz .LBB26_38
; %bb.37:                               ;   in Loop: Header=BB26_11 Depth=1
	s_ashr_i32 s2, s21, 31
	s_add_u32 s4, s20, s2
	s_mov_b32 s3, s2
	s_addc_u32 s5, s21, s2
	s_xor_b64 s[70:71], s[4:5], s[2:3]
	v_cvt_f32_u32_e32 v14, s70
	v_cvt_f32_u32_e32 v15, s71
	s_sub_u32 s4, 0, s70
	s_subb_u32 s5, 0, s71
	v_ashrrev_i32_e32 v38, 31, v37
	v_fmac_f32_e32 v14, 0x4f800000, v15
	v_rcp_f32_e32 v14, v14
	v_mov_b32_e32 v39, v38
	v_mul_f32_e32 v14, 0x5f7ffffc, v14
	v_mul_f32_e32 v15, 0x2f800000, v14
	v_trunc_f32_e32 v15, v15
	v_fmac_f32_e32 v14, 0xcf800000, v15
	v_cvt_u32_f32_e32 v15, v15
	v_cvt_u32_f32_e32 v14, v14
	v_readfirstlane_b32 s77, v15
	v_readfirstlane_b32 s2, v14
	s_mul_i32 s3, s4, s77
	s_mul_hi_u32 s79, s4, s2
	s_mul_i32 s78, s5, s2
	s_add_i32 s3, s79, s3
	s_add_i32 s3, s3, s78
	s_mul_i32 s80, s4, s2
	s_mul_i32 s79, s2, s3
	s_mul_hi_u32 s81, s2, s80
	s_mul_hi_u32 s78, s2, s3
	s_add_u32 s79, s81, s79
	s_addc_u32 s78, 0, s78
	s_mul_hi_u32 s82, s77, s80
	s_mul_i32 s80, s77, s80
	s_add_u32 s79, s79, s80
	s_mul_hi_u32 s81, s77, s3
	s_addc_u32 s78, s78, s82
	s_addc_u32 s79, s81, 0
	s_mul_i32 s3, s77, s3
	s_add_u32 s3, s78, s3
	s_addc_u32 s78, 0, s79
	s_add_u32 s79, s2, s3
	s_cselect_b64 s[2:3], -1, 0
	s_cmp_lg_u64 s[2:3], 0
	s_addc_u32 s77, s77, s78
	s_mul_i32 s2, s4, s77
	s_mul_hi_u32 s3, s4, s79
	s_add_i32 s2, s3, s2
	s_mul_i32 s5, s5, s79
	s_add_i32 s2, s2, s5
	s_mul_i32 s4, s4, s79
	s_mul_hi_u32 s5, s77, s4
	s_mul_i32 s78, s77, s4
	s_mul_i32 s81, s79, s2
	s_mul_hi_u32 s4, s79, s4
	s_mul_hi_u32 s80, s79, s2
	s_add_u32 s4, s4, s81
	s_addc_u32 s80, 0, s80
	s_add_u32 s4, s4, s78
	s_mul_hi_u32 s3, s77, s2
	s_addc_u32 s4, s80, s5
	s_addc_u32 s3, s3, 0
	s_mul_i32 s2, s77, s2
	s_add_u32 s2, s4, s2
	s_addc_u32 s4, 0, s3
	s_add_u32 s5, s79, s2
	s_cselect_b64 s[2:3], -1, 0
	s_cmp_lg_u64 s[2:3], 0
	v_lshl_add_u64 v[14:15], v[36:37], 0, v[38:39]
	s_addc_u32 s4, s77, s4
	v_xor_b32_e32 v39, v14, v38
	v_xor_b32_e32 v25, v15, v38
	v_mad_u64_u32 v[14:15], s[2:3], v39, s4, 0
	v_mul_hi_u32 v36, v39, s5
	v_mov_b32_e32 v37, v24
	v_lshl_add_u64 v[14:15], v[36:37], 0, v[14:15]
	v_mad_u64_u32 v[40:41], s[2:3], v25, s5, 0
	v_add_co_u32_e32 v14, vcc, v14, v40
	v_mad_u64_u32 v[36:37], s[2:3], v25, s4, 0
	s_nop 0
	v_addc_co_u32_e32 v14, vcc, v15, v41, vcc
	v_mov_b32_e32 v15, v24
	s_nop 0
	v_addc_co_u32_e32 v37, vcc, 0, v37, vcc
	v_lshl_add_u64 v[14:15], v[14:15], 0, v[36:37]
	v_mul_lo_u32 v36, s71, v14
	v_mul_lo_u32 v37, s70, v15
	v_mad_u64_u32 v[14:15], s[2:3], s70, v14, 0
	v_add3_u32 v15, v15, v37, v36
	v_sub_u32_e32 v36, v25, v15
	v_mov_b32_e32 v37, s71
	v_sub_co_u32_e32 v14, vcc, v39, v14
	s_nop 1
	v_subb_co_u32_e64 v36, s[2:3], v36, v37, vcc
	v_subrev_co_u32_e64 v39, s[2:3], s70, v14
	v_subb_co_u32_e32 v15, vcc, v25, v15, vcc
	s_nop 0
	v_subbrev_co_u32_e64 v40, s[4:5], 0, v36, s[2:3]
	v_cmp_le_u32_e64 s[4:5], s71, v40
	v_subb_co_u32_e64 v36, s[2:3], v36, v37, s[2:3]
	s_nop 0
	v_cndmask_b32_e64 v41, 0, -1, s[4:5]
	v_cmp_le_u32_e64 s[4:5], s70, v39
	v_subrev_co_u32_e64 v37, s[2:3], s70, v39
	s_nop 0
	v_cndmask_b32_e64 v42, 0, -1, s[4:5]
	v_cmp_eq_u32_e64 s[4:5], s71, v40
	v_subbrev_co_u32_e64 v36, s[2:3], 0, v36, s[2:3]
	s_nop 0
	v_cndmask_b32_e64 v41, v41, v42, s[4:5]
	v_cmp_le_u32_e32 vcc, s71, v15
	v_cmp_ne_u32_e64 s[2:3], 0, v41
	s_nop 0
	v_cndmask_b32_e64 v25, 0, -1, vcc
	v_cmp_le_u32_e32 vcc, s70, v14
	v_cndmask_b32_e64 v36, v40, v36, s[2:3]
	s_nop 0
	v_cndmask_b32_e64 v40, 0, -1, vcc
	v_cmp_eq_u32_e32 vcc, s71, v15
	s_nop 1
	v_cndmask_b32_e32 v25, v25, v40, vcc
	v_cmp_ne_u32_e32 vcc, 0, v25
	v_cndmask_b32_e64 v25, v39, v37, s[2:3]
	s_nop 0
	v_cndmask_b32_e32 v14, v14, v25, vcc
	v_cndmask_b32_e32 v15, v15, v36, vcc
	v_xor_b32_e32 v14, v14, v38
	v_xor_b32_e32 v15, v15, v38
	v_sub_co_u32_e32 v14, vcc, v14, v38
                                        ; implicit-def: $vgpr36_vgpr37
	s_nop 1
	v_subb_co_u32_e32 v15, vcc, v15, v38, vcc
.LBB26_38:                              ;   in Loop: Header=BB26_11 Depth=1
	s_andn2_saveexec_b64 s[2:3], s[68:69]
	s_cbranch_execz .LBB26_40
; %bb.39:                               ;   in Loop: Header=BB26_11 Depth=1
	v_cvt_f32_u32_e32 v14, s20
	s_sub_i32 s4, 0, s20
	v_rcp_iflag_f32_e32 v14, v14
	s_nop 0
	v_mul_f32_e32 v14, 0x4f7ffffe, v14
	v_cvt_u32_f32_e32 v14, v14
	v_mul_lo_u32 v15, s4, v14
	v_mul_hi_u32 v15, v14, v15
	v_add_u32_e32 v14, v14, v15
	v_mul_hi_u32 v14, v36, v14
	v_mul_lo_u32 v14, v14, s20
	v_sub_u32_e32 v14, v36, v14
	v_subrev_u32_e32 v15, s20, v14
	v_cmp_le_u32_e32 vcc, s20, v14
	s_nop 1
	v_cndmask_b32_e32 v14, v14, v15, vcc
	v_subrev_u32_e32 v15, s20, v14
	v_cmp_le_u32_e32 vcc, s20, v14
	s_nop 1
	v_cndmask_b32_e32 v14, v14, v15, vcc
	v_mov_b32_e32 v15, v24
.LBB26_40:                              ;   in Loop: Header=BB26_11 Depth=1
	s_or_b64 exec, exec, s[2:3]
	s_and_b64 vcc, exec, s[0:1]
	s_cbranch_vccnz .LBB26_30
.LBB26_41:                              ;   in Loop: Header=BB26_11 Depth=1
	v_lshl_add_u64 v[16:17], v[0:1], 0, s[62:63]
	v_mul_lo_u32 v25, s40, v33
	v_mul_lo_u32 v38, s41, v32
	v_mad_u64_u32 v[36:37], s[2:3], s40, v32, v[16:17]
	v_add3_u32 v37, v38, v37, v25
	v_or_b32_e32 v25, s21, v37
	v_cmp_ne_u64_e32 vcc, 0, v[24:25]
	s_and_saveexec_b64 s[2:3], vcc
	s_xor_b64 s[68:69], exec, s[2:3]
	s_cbranch_execz .LBB26_43
; %bb.42:                               ;   in Loop: Header=BB26_11 Depth=1
	s_ashr_i32 s2, s21, 31
	s_add_u32 s4, s20, s2
	s_mov_b32 s3, s2
	s_addc_u32 s5, s21, s2
	s_xor_b64 s[70:71], s[4:5], s[2:3]
	v_cvt_f32_u32_e32 v16, s70
	v_cvt_f32_u32_e32 v17, s71
	s_sub_u32 s4, 0, s70
	s_subb_u32 s5, 0, s71
	v_ashrrev_i32_e32 v38, 31, v37
	v_fmac_f32_e32 v16, 0x4f800000, v17
	v_rcp_f32_e32 v16, v16
	v_mov_b32_e32 v39, v38
	v_mul_f32_e32 v16, 0x5f7ffffc, v16
	v_mul_f32_e32 v17, 0x2f800000, v16
	v_trunc_f32_e32 v17, v17
	v_fmac_f32_e32 v16, 0xcf800000, v17
	v_cvt_u32_f32_e32 v17, v17
	v_cvt_u32_f32_e32 v16, v16
	v_readfirstlane_b32 s77, v17
	v_readfirstlane_b32 s2, v16
	s_mul_i32 s3, s4, s77
	s_mul_hi_u32 s79, s4, s2
	s_mul_i32 s78, s5, s2
	s_add_i32 s3, s79, s3
	s_add_i32 s3, s3, s78
	s_mul_i32 s80, s4, s2
	s_mul_i32 s79, s2, s3
	s_mul_hi_u32 s81, s2, s80
	s_mul_hi_u32 s78, s2, s3
	s_add_u32 s79, s81, s79
	s_addc_u32 s78, 0, s78
	s_mul_hi_u32 s82, s77, s80
	s_mul_i32 s80, s77, s80
	s_add_u32 s79, s79, s80
	s_mul_hi_u32 s81, s77, s3
	s_addc_u32 s78, s78, s82
	s_addc_u32 s79, s81, 0
	s_mul_i32 s3, s77, s3
	s_add_u32 s3, s78, s3
	s_addc_u32 s78, 0, s79
	s_add_u32 s79, s2, s3
	s_cselect_b64 s[2:3], -1, 0
	s_cmp_lg_u64 s[2:3], 0
	s_addc_u32 s77, s77, s78
	s_mul_i32 s2, s4, s77
	s_mul_hi_u32 s3, s4, s79
	s_add_i32 s2, s3, s2
	s_mul_i32 s5, s5, s79
	s_add_i32 s2, s2, s5
	s_mul_i32 s4, s4, s79
	s_mul_hi_u32 s5, s77, s4
	s_mul_i32 s78, s77, s4
	s_mul_i32 s81, s79, s2
	s_mul_hi_u32 s4, s79, s4
	s_mul_hi_u32 s80, s79, s2
	s_add_u32 s4, s4, s81
	s_addc_u32 s80, 0, s80
	s_add_u32 s4, s4, s78
	s_mul_hi_u32 s3, s77, s2
	s_addc_u32 s4, s80, s5
	s_addc_u32 s3, s3, 0
	s_mul_i32 s2, s77, s2
	s_add_u32 s2, s4, s2
	s_addc_u32 s4, 0, s3
	s_add_u32 s5, s79, s2
	s_cselect_b64 s[2:3], -1, 0
	s_cmp_lg_u64 s[2:3], 0
	v_lshl_add_u64 v[16:17], v[36:37], 0, v[38:39]
	s_addc_u32 s4, s77, s4
	v_xor_b32_e32 v39, v16, v38
	v_xor_b32_e32 v25, v17, v38
	v_mad_u64_u32 v[16:17], s[2:3], v39, s4, 0
	v_mul_hi_u32 v36, v39, s5
	v_mov_b32_e32 v37, v24
	v_lshl_add_u64 v[16:17], v[36:37], 0, v[16:17]
	v_mad_u64_u32 v[40:41], s[2:3], v25, s5, 0
	v_add_co_u32_e32 v16, vcc, v16, v40
	v_mad_u64_u32 v[36:37], s[2:3], v25, s4, 0
	s_nop 0
	v_addc_co_u32_e32 v16, vcc, v17, v41, vcc
	v_mov_b32_e32 v17, v24
	s_nop 0
	v_addc_co_u32_e32 v37, vcc, 0, v37, vcc
	v_lshl_add_u64 v[16:17], v[16:17], 0, v[36:37]
	v_mul_lo_u32 v36, s71, v16
	v_mul_lo_u32 v37, s70, v17
	v_mad_u64_u32 v[16:17], s[2:3], s70, v16, 0
	v_add3_u32 v17, v17, v37, v36
	v_sub_u32_e32 v36, v25, v17
	v_mov_b32_e32 v37, s71
	v_sub_co_u32_e32 v16, vcc, v39, v16
	s_nop 1
	v_subb_co_u32_e64 v36, s[2:3], v36, v37, vcc
	v_subrev_co_u32_e64 v39, s[2:3], s70, v16
	v_subb_co_u32_e32 v17, vcc, v25, v17, vcc
	s_nop 0
	v_subbrev_co_u32_e64 v40, s[4:5], 0, v36, s[2:3]
	v_cmp_le_u32_e64 s[4:5], s71, v40
	v_subb_co_u32_e64 v36, s[2:3], v36, v37, s[2:3]
	s_nop 0
	v_cndmask_b32_e64 v41, 0, -1, s[4:5]
	v_cmp_le_u32_e64 s[4:5], s70, v39
	v_subrev_co_u32_e64 v37, s[2:3], s70, v39
	s_nop 0
	v_cndmask_b32_e64 v42, 0, -1, s[4:5]
	v_cmp_eq_u32_e64 s[4:5], s71, v40
	v_subbrev_co_u32_e64 v36, s[2:3], 0, v36, s[2:3]
	s_nop 0
	v_cndmask_b32_e64 v41, v41, v42, s[4:5]
	v_cmp_le_u32_e32 vcc, s71, v17
	v_cmp_ne_u32_e64 s[2:3], 0, v41
	s_nop 0
	v_cndmask_b32_e64 v25, 0, -1, vcc
	v_cmp_le_u32_e32 vcc, s70, v16
	v_cndmask_b32_e64 v36, v40, v36, s[2:3]
	s_nop 0
	v_cndmask_b32_e64 v40, 0, -1, vcc
	v_cmp_eq_u32_e32 vcc, s71, v17
	s_nop 1
	v_cndmask_b32_e32 v25, v25, v40, vcc
	v_cmp_ne_u32_e32 vcc, 0, v25
	v_cndmask_b32_e64 v25, v39, v37, s[2:3]
	s_nop 0
	v_cndmask_b32_e32 v16, v16, v25, vcc
	v_cndmask_b32_e32 v17, v17, v36, vcc
	v_xor_b32_e32 v16, v16, v38
	v_xor_b32_e32 v17, v17, v38
	v_sub_co_u32_e32 v16, vcc, v16, v38
                                        ; implicit-def: $vgpr36_vgpr37
	s_nop 1
	v_subb_co_u32_e32 v17, vcc, v17, v38, vcc
.LBB26_43:                              ;   in Loop: Header=BB26_11 Depth=1
	s_andn2_saveexec_b64 s[2:3], s[68:69]
	s_cbranch_execz .LBB26_45
; %bb.44:                               ;   in Loop: Header=BB26_11 Depth=1
	v_cvt_f32_u32_e32 v16, s20
	s_sub_i32 s4, 0, s20
	v_rcp_iflag_f32_e32 v16, v16
	s_nop 0
	v_mul_f32_e32 v16, 0x4f7ffffe, v16
	v_cvt_u32_f32_e32 v16, v16
	v_mul_lo_u32 v17, s4, v16
	v_mul_hi_u32 v17, v16, v17
	v_add_u32_e32 v16, v16, v17
	v_mul_hi_u32 v16, v36, v16
	v_mul_lo_u32 v16, v16, s20
	v_sub_u32_e32 v16, v36, v16
	v_subrev_u32_e32 v17, s20, v16
	v_cmp_le_u32_e32 vcc, s20, v16
	s_nop 1
	v_cndmask_b32_e32 v16, v16, v17, vcc
	v_subrev_u32_e32 v17, s20, v16
	v_cmp_le_u32_e32 vcc, s20, v16
	s_nop 1
	v_cndmask_b32_e32 v16, v16, v17, vcc
	v_mov_b32_e32 v17, v24
.LBB26_45:                              ;   in Loop: Header=BB26_11 Depth=1
	s_or_b64 exec, exec, s[2:3]
	s_and_b64 vcc, exec, s[0:1]
	s_cbranch_vccnz .LBB26_10
.LBB26_46:                              ;   in Loop: Header=BB26_11 Depth=1
	v_lshl_add_u64 v[18:19], v[0:1], 0, s[64:65]
	v_mul_lo_u32 v25, s40, v35
	v_mul_lo_u32 v38, s41, v34
	v_mad_u64_u32 v[36:37], s[0:1], s40, v34, v[18:19]
	v_add3_u32 v37, v38, v37, v25
	v_or_b32_e32 v25, s21, v37
	v_cmp_ne_u64_e32 vcc, 0, v[24:25]
	s_and_saveexec_b64 s[0:1], vcc
	s_xor_b64 s[4:5], exec, s[0:1]
	s_cbranch_execz .LBB26_48
; %bb.47:                               ;   in Loop: Header=BB26_11 Depth=1
	s_ashr_i32 s0, s21, 31
	s_add_u32 s2, s20, s0
	s_mov_b32 s1, s0
	s_addc_u32 s3, s21, s0
	s_xor_b64 s[68:69], s[2:3], s[0:1]
	v_cvt_f32_u32_e32 v18, s68
	v_cvt_f32_u32_e32 v19, s69
	s_sub_u32 s2, 0, s68
	s_subb_u32 s3, 0, s69
	v_ashrrev_i32_e32 v38, 31, v37
	v_fmac_f32_e32 v18, 0x4f800000, v19
	v_rcp_f32_e32 v18, v18
	v_mov_b32_e32 v39, v38
	v_mul_f32_e32 v18, 0x5f7ffffc, v18
	v_mul_f32_e32 v19, 0x2f800000, v18
	v_trunc_f32_e32 v19, v19
	v_fmac_f32_e32 v18, 0xcf800000, v19
	v_cvt_u32_f32_e32 v19, v19
	v_cvt_u32_f32_e32 v18, v18
	v_readfirstlane_b32 s70, v19
	v_readfirstlane_b32 s0, v18
	s_mul_i32 s1, s2, s70
	s_mul_hi_u32 s77, s2, s0
	s_mul_i32 s71, s3, s0
	s_add_i32 s1, s77, s1
	s_add_i32 s1, s1, s71
	s_mul_i32 s78, s2, s0
	s_mul_i32 s77, s0, s1
	s_mul_hi_u32 s79, s0, s78
	s_mul_hi_u32 s71, s0, s1
	s_add_u32 s77, s79, s77
	s_addc_u32 s71, 0, s71
	s_mul_hi_u32 s80, s70, s78
	s_mul_i32 s78, s70, s78
	s_add_u32 s77, s77, s78
	s_mul_hi_u32 s79, s70, s1
	s_addc_u32 s71, s71, s80
	s_addc_u32 s77, s79, 0
	s_mul_i32 s1, s70, s1
	s_add_u32 s1, s71, s1
	s_addc_u32 s71, 0, s77
	s_add_u32 s77, s0, s1
	s_cselect_b64 s[0:1], -1, 0
	s_cmp_lg_u64 s[0:1], 0
	s_addc_u32 s70, s70, s71
	s_mul_i32 s0, s2, s70
	s_mul_hi_u32 s1, s2, s77
	s_add_i32 s0, s1, s0
	s_mul_i32 s3, s3, s77
	s_add_i32 s0, s0, s3
	s_mul_i32 s2, s2, s77
	s_mul_hi_u32 s3, s70, s2
	s_mul_i32 s71, s70, s2
	s_mul_i32 s79, s77, s0
	s_mul_hi_u32 s2, s77, s2
	s_mul_hi_u32 s78, s77, s0
	s_add_u32 s2, s2, s79
	s_addc_u32 s78, 0, s78
	s_add_u32 s2, s2, s71
	s_mul_hi_u32 s1, s70, s0
	s_addc_u32 s2, s78, s3
	s_addc_u32 s1, s1, 0
	s_mul_i32 s0, s70, s0
	s_add_u32 s0, s2, s0
	s_addc_u32 s2, 0, s1
	s_add_u32 s3, s77, s0
	s_cselect_b64 s[0:1], -1, 0
	s_cmp_lg_u64 s[0:1], 0
	v_lshl_add_u64 v[18:19], v[36:37], 0, v[38:39]
	s_addc_u32 s2, s70, s2
	v_xor_b32_e32 v39, v18, v38
	v_xor_b32_e32 v25, v19, v38
	v_mad_u64_u32 v[18:19], s[0:1], v39, s2, 0
	v_mul_hi_u32 v36, v39, s3
	v_mov_b32_e32 v37, v24
	v_lshl_add_u64 v[18:19], v[36:37], 0, v[18:19]
	v_mad_u64_u32 v[40:41], s[0:1], v25, s3, 0
	v_add_co_u32_e32 v18, vcc, v18, v40
	v_mad_u64_u32 v[36:37], s[0:1], v25, s2, 0
	s_nop 0
	v_addc_co_u32_e32 v18, vcc, v19, v41, vcc
	v_mov_b32_e32 v19, v24
	s_nop 0
	v_addc_co_u32_e32 v37, vcc, 0, v37, vcc
	v_lshl_add_u64 v[18:19], v[18:19], 0, v[36:37]
	v_mul_lo_u32 v36, s69, v18
	v_mul_lo_u32 v37, s68, v19
	v_mad_u64_u32 v[18:19], s[0:1], s68, v18, 0
	v_add3_u32 v19, v19, v37, v36
	v_sub_u32_e32 v36, v25, v19
	v_mov_b32_e32 v37, s69
	v_sub_co_u32_e32 v18, vcc, v39, v18
	s_nop 1
	v_subb_co_u32_e64 v36, s[0:1], v36, v37, vcc
	v_subrev_co_u32_e64 v39, s[0:1], s68, v18
	v_subb_co_u32_e32 v19, vcc, v25, v19, vcc
	s_nop 0
	v_subbrev_co_u32_e64 v40, s[2:3], 0, v36, s[0:1]
	v_cmp_le_u32_e64 s[2:3], s69, v40
	v_subb_co_u32_e64 v36, s[0:1], v36, v37, s[0:1]
	s_nop 0
	v_cndmask_b32_e64 v41, 0, -1, s[2:3]
	v_cmp_le_u32_e64 s[2:3], s68, v39
	v_subrev_co_u32_e64 v37, s[0:1], s68, v39
	s_nop 0
	v_cndmask_b32_e64 v42, 0, -1, s[2:3]
	v_cmp_eq_u32_e64 s[2:3], s69, v40
	v_subbrev_co_u32_e64 v36, s[0:1], 0, v36, s[0:1]
	s_nop 0
	v_cndmask_b32_e64 v41, v41, v42, s[2:3]
	v_cmp_le_u32_e32 vcc, s69, v19
	v_cmp_ne_u32_e64 s[0:1], 0, v41
	s_nop 0
	v_cndmask_b32_e64 v25, 0, -1, vcc
	v_cmp_le_u32_e32 vcc, s68, v18
	v_cndmask_b32_e64 v36, v40, v36, s[0:1]
	s_nop 0
	v_cndmask_b32_e64 v40, 0, -1, vcc
	v_cmp_eq_u32_e32 vcc, s69, v19
	s_nop 1
	v_cndmask_b32_e32 v25, v25, v40, vcc
	v_cmp_ne_u32_e32 vcc, 0, v25
	v_cndmask_b32_e64 v25, v39, v37, s[0:1]
	s_nop 0
	v_cndmask_b32_e32 v18, v18, v25, vcc
	v_cndmask_b32_e32 v19, v19, v36, vcc
	v_xor_b32_e32 v18, v18, v38
	v_xor_b32_e32 v19, v19, v38
	v_sub_co_u32_e32 v18, vcc, v18, v38
                                        ; implicit-def: $vgpr36_vgpr37
	s_nop 1
	v_subb_co_u32_e32 v19, vcc, v19, v38, vcc
.LBB26_48:                              ;   in Loop: Header=BB26_11 Depth=1
	s_andn2_saveexec_b64 s[0:1], s[4:5]
	s_cbranch_execz .LBB26_9
; %bb.49:                               ;   in Loop: Header=BB26_11 Depth=1
	v_cvt_f32_u32_e32 v18, s20
	s_sub_i32 s2, 0, s20
	v_rcp_iflag_f32_e32 v18, v18
	s_nop 0
	v_mul_f32_e32 v18, 0x4f7ffffe, v18
	v_cvt_u32_f32_e32 v18, v18
	v_mul_lo_u32 v19, s2, v18
	v_mul_hi_u32 v19, v18, v19
	v_add_u32_e32 v18, v18, v19
	v_mul_hi_u32 v18, v36, v18
	v_mul_lo_u32 v18, v18, s20
	v_sub_u32_e32 v18, v36, v18
	v_subrev_u32_e32 v19, s20, v18
	v_cmp_le_u32_e32 vcc, s20, v18
	s_nop 1
	v_cndmask_b32_e32 v18, v18, v19, vcc
	v_subrev_u32_e32 v19, s20, v18
	v_cmp_le_u32_e32 vcc, s20, v18
	s_nop 1
	v_cndmask_b32_e32 v18, v18, v19, vcc
	v_mov_b32_e32 v19, v24
	s_branch .LBB26_9
.LBB26_50:
	s_or_b64 exec, exec, s[50:51]
	v_mad_u64_u32 v[2:3], s[0:1], v22, s10, v[2:3]
	v_mul_lo_u32 v0, v22, s11
	v_mul_lo_u32 v1, v23, s10
	v_cmp_ne_u64_e32 vcc, v[20:21], v[22:23]
	v_add3_u32 v3, v1, v3, v0
	v_mov_b64_e32 v[4:5], s[40:41]
	s_and_b64 s[0:1], vcc, exec
	s_andn2_saveexec_b64 s[2:3], s[24:25]
	s_cbranch_execz .LBB26_7
.LBB26_51:
	s_sub_u32 s4, 0, s8
	s_subb_u32 s5, 0, s9
	v_mov_b64_e32 v[4:5], s[4:5]
	s_or_b64 s[0:1], s[0:1], exec
	s_or_b64 exec, exec, s[2:3]
	s_and_b64 exec, exec, s[0:1]
	s_cbranch_execz .LBB26_64
.LBB26_52:
	v_cvt_f32_u32_e32 v0, s8
	s_sub_u32 s14, 0, s14
	v_cndmask_b32_e64 v6, 0, 1, s[22:23]
	s_subb_u32 s15, 0, s15
	v_rcp_iflag_f32_e32 v1, v0
	s_sub_i32 s2, 0, s8
	v_cmp_ne_u32_e64 s[0:1], 1, v6
	s_mov_b64 s[24:25], 0
	v_mul_f32_e32 v1, 0x4f7ffffe, v1
	v_cvt_u32_f32_e32 v1, v1
	v_mov_b32_e32 v0, 0
	s_ashr_i32 s22, s9, 31
	s_ashr_i32 s26, s21, 31
	v_mul_lo_u32 v6, s2, v1
	v_mul_hi_u32 v6, v1, v6
	v_add_u32_e32 v12, v1, v6
	s_branch .LBB26_55
.LBB26_53:                              ;   in Loop: Header=BB26_55 Depth=1
	s_or_b64 exec, exec, s[2:3]
	v_ashrrev_i32_e32 v1, 31, v11
	v_and_b32_e32 v9, s21, v1
	v_and_b32_e32 v8, s20, v1
	v_lshl_add_u64 v[8:9], v[8:9], 0, v[10:11]
	v_mov_b32_e32 v1, s21
	v_sub_co_u32_e32 v10, vcc, s20, v8
	s_nop 1
	v_subb_co_u32_e32 v1, vcc, v1, v9, vcc
	v_cmp_gt_i64_e32 vcc, s[12:13], v[8:9]
	s_nop 1
	v_cndmask_b32_e32 v9, v1, v9, vcc
	v_cndmask_b32_e32 v8, v10, v8, vcc
.LBB26_54:                              ;   in Loop: Header=BB26_55 Depth=1
	v_mov_b64_e32 v[10:11], s[16:17]
	v_mad_u64_u32 v[10:11], s[2:3], v6, s12, v[10:11]
	v_mul_lo_u32 v1, v6, s13
	v_mul_lo_u32 v6, v7, s12
	v_add3_u32 v11, v6, v11, v1
	v_lshl_add_u64 v[6:7], v[10:11], 0, v[8:9]
	global_load_ubyte v1, v[6:7], off
	v_lshl_add_u64 v[6:7], s[18:19], 0, v[2:3]
	v_lshl_add_u64 v[2:3], v[2:3], 0, s[10:11]
	v_cmp_le_i64_e32 vcc, s[6:7], v[2:3]
	s_or_b64 s[24:25], vcc, s[24:25]
	s_waitcnt vmcnt(0)
	global_store_byte v[6:7], v1, off
	s_andn2_b64 exec, exec, s[24:25]
	s_cbranch_execz .LBB26_64
.LBB26_55:                              ; =>This Inner Loop Header: Depth=1
	v_or_b32_e32 v1, s9, v3
	v_cmp_ne_u64_e32 vcc, 0, v[0:1]
                                        ; implicit-def: $vgpr6_vgpr7
	s_and_saveexec_b64 s[2:3], vcc
	s_xor_b64 s[4:5], exec, s[2:3]
	s_cbranch_execnz .LBB26_58
; %bb.56:                               ;   in Loop: Header=BB26_55 Depth=1
	s_andn2_saveexec_b64 s[2:3], s[4:5]
	s_cbranch_execnz .LBB26_59
.LBB26_57:                              ;   in Loop: Header=BB26_55 Depth=1
	s_or_b64 exec, exec, s[2:3]
	s_and_b64 vcc, exec, s[0:1]
	v_mov_b64_e32 v[8:9], 0
	s_cbranch_vccnz .LBB26_54
	s_branch .LBB26_60
.LBB26_58:                              ;   in Loop: Header=BB26_55 Depth=1
	s_add_u32 s2, s8, s22
	s_mov_b32 s23, s22
	s_addc_u32 s3, s9, s22
	s_xor_b64 s[28:29], s[2:3], s[22:23]
	v_cvt_f32_u32_e32 v1, s28
	v_cvt_f32_u32_e32 v6, s29
	s_sub_u32 s23, 0, s28
	s_subb_u32 s27, 0, s29
	v_mov_b32_e32 v11, v0
	v_fmac_f32_e32 v1, 0x4f800000, v6
	v_rcp_f32_e32 v1, v1
	s_nop 0
	v_mul_f32_e32 v1, 0x5f7ffffc, v1
	v_mul_f32_e32 v6, 0x2f800000, v1
	v_trunc_f32_e32 v6, v6
	v_fmac_f32_e32 v1, 0xcf800000, v6
	v_cvt_u32_f32_e32 v6, v6
	v_cvt_u32_f32_e32 v1, v1
	v_readfirstlane_b32 s30, v6
	v_readfirstlane_b32 s2, v1
	s_mul_i32 s3, s23, s30
	s_mul_hi_u32 s33, s23, s2
	s_mul_i32 s31, s27, s2
	s_add_i32 s3, s33, s3
	s_add_i32 s3, s3, s31
	s_mul_i32 s34, s23, s2
	s_mul_i32 s33, s2, s3
	s_mul_hi_u32 s35, s2, s34
	s_mul_hi_u32 s31, s2, s3
	s_add_u32 s33, s35, s33
	s_addc_u32 s31, 0, s31
	s_mul_hi_u32 s36, s30, s34
	s_mul_i32 s34, s30, s34
	s_add_u32 s33, s33, s34
	s_mul_hi_u32 s35, s30, s3
	s_addc_u32 s31, s31, s36
	s_addc_u32 s33, s35, 0
	s_mul_i32 s3, s30, s3
	s_add_u32 s3, s31, s3
	s_addc_u32 s31, 0, s33
	s_add_u32 s33, s2, s3
	s_cselect_b64 s[2:3], -1, 0
	s_cmp_lg_u64 s[2:3], 0
	s_addc_u32 s30, s30, s31
	s_mul_i32 s2, s23, s30
	s_mul_hi_u32 s3, s23, s33
	s_add_i32 s2, s3, s2
	s_mul_i32 s27, s27, s33
	s_add_i32 s2, s2, s27
	s_mul_i32 s23, s23, s33
	s_mul_hi_u32 s27, s30, s23
	s_mul_i32 s31, s30, s23
	s_mul_i32 s35, s33, s2
	s_mul_hi_u32 s23, s33, s23
	s_mul_hi_u32 s34, s33, s2
	s_add_u32 s23, s23, s35
	s_addc_u32 s34, 0, s34
	s_add_u32 s23, s23, s31
	s_mul_hi_u32 s3, s30, s2
	s_addc_u32 s23, s34, s27
	s_addc_u32 s3, s3, 0
	s_mul_i32 s2, s30, s2
	s_add_u32 s2, s23, s2
	s_addc_u32 s23, 0, s3
	s_add_u32 s27, s33, s2
	v_ashrrev_i32_e32 v6, 31, v3
	s_cselect_b64 s[2:3], -1, 0
	v_mov_b32_e32 v7, v6
	s_cmp_lg_u64 s[2:3], 0
	v_lshl_add_u64 v[8:9], v[2:3], 0, v[6:7]
	s_addc_u32 s23, s30, s23
	v_xor_b32_e32 v7, v8, v6
	v_xor_b32_e32 v1, v9, v6
	v_mad_u64_u32 v[8:9], s[2:3], v7, s23, 0
	v_mul_hi_u32 v10, v7, s27
	v_lshl_add_u64 v[8:9], v[10:11], 0, v[8:9]
	v_mad_u64_u32 v[14:15], s[2:3], v1, s27, 0
	v_add_co_u32_e32 v8, vcc, v8, v14
	v_mad_u64_u32 v[10:11], s[2:3], v1, s23, 0
	s_nop 0
	v_addc_co_u32_e32 v8, vcc, v9, v15, vcc
	v_mov_b32_e32 v9, v0
	s_nop 0
	v_addc_co_u32_e32 v11, vcc, 0, v11, vcc
	v_lshl_add_u64 v[8:9], v[8:9], 0, v[10:11]
	v_mul_lo_u32 v13, s29, v8
	v_mul_lo_u32 v14, s28, v9
	v_mad_u64_u32 v[10:11], s[2:3], s28, v8, 0
	v_add3_u32 v13, v11, v14, v13
	v_sub_u32_e32 v11, v1, v13
	v_mov_b32_e32 v14, s29
	v_sub_co_u32_e32 v7, vcc, v7, v10
	s_nop 1
	v_subb_co_u32_e64 v10, s[2:3], v11, v14, vcc
	v_subrev_co_u32_e64 v11, s[2:3], s28, v7
	v_subb_co_u32_e32 v1, vcc, v1, v13, vcc
	s_nop 0
	v_subbrev_co_u32_e64 v10, s[2:3], 0, v10, s[2:3]
	v_cmp_le_u32_e64 s[2:3], s29, v10
	v_cmp_le_u32_e32 vcc, s29, v1
	s_nop 0
	v_cndmask_b32_e64 v14, 0, -1, s[2:3]
	v_cmp_le_u32_e64 s[2:3], s28, v11
	v_cndmask_b32_e64 v13, 0, -1, vcc
	v_cmp_le_u32_e32 vcc, s28, v7
	v_cndmask_b32_e64 v11, 0, -1, s[2:3]
	v_cmp_eq_u32_e64 s[2:3], s29, v10
	v_cndmask_b32_e64 v7, 0, -1, vcc
	v_cmp_eq_u32_e32 vcc, s29, v1
	v_cndmask_b32_e64 v16, v14, v11, s[2:3]
	v_lshl_add_u64 v[10:11], v[8:9], 0, 2
	v_lshl_add_u64 v[14:15], v[8:9], 0, 1
	v_cmp_ne_u32_e64 s[2:3], 0, v16
	v_cndmask_b32_e32 v1, v13, v7, vcc
	v_cmp_ne_u32_e32 vcc, 0, v1
	v_cndmask_b32_e64 v7, v14, v10, s[2:3]
	v_cndmask_b32_e64 v11, v15, v11, s[2:3]
	v_cndmask_b32_e32 v7, v8, v7, vcc
	v_xor_b32_e32 v8, s22, v6
	v_cndmask_b32_e32 v1, v9, v11, vcc
	v_xor_b32_e32 v6, v7, v8
	v_xor_b32_e32 v1, v1, v8
	v_sub_co_u32_e32 v6, vcc, v6, v8
	s_nop 1
	v_subb_co_u32_e32 v7, vcc, v1, v8, vcc
	s_andn2_saveexec_b64 s[2:3], s[4:5]
	s_cbranch_execz .LBB26_57
.LBB26_59:                              ;   in Loop: Header=BB26_55 Depth=1
	v_mul_hi_u32 v1, v2, v12
	v_mul_lo_u32 v6, v1, s8
	v_sub_u32_e32 v6, v2, v6
	v_subrev_u32_e32 v7, s8, v6
	v_cmp_le_u32_e32 vcc, s8, v6
	s_nop 1
	v_cndmask_b32_e32 v6, v6, v7, vcc
	v_add_u32_e32 v7, 1, v1
	v_cndmask_b32_e32 v1, v1, v7, vcc
	v_add_u32_e32 v7, 1, v1
	v_cmp_le_u32_e32 vcc, s8, v6
	s_nop 1
	v_cndmask_b32_e32 v6, v1, v7, vcc
	v_mov_b32_e32 v7, v0
	s_or_b64 exec, exec, s[2:3]
	s_and_b64 vcc, exec, s[0:1]
	v_mov_b64_e32 v[8:9], 0
	s_cbranch_vccnz .LBB26_54
.LBB26_60:                              ;   in Loop: Header=BB26_55 Depth=1
	v_lshl_add_u64 v[8:9], s[14:15], 0, v[2:3]
	v_mul_lo_u32 v1, v4, v7
	v_mul_lo_u32 v10, v5, v6
	v_mad_u64_u32 v[8:9], s[2:3], v4, v6, v[8:9]
	v_add3_u32 v9, v10, v9, v1
	v_or_b32_e32 v1, s21, v9
	v_cmp_ne_u64_e32 vcc, 0, v[0:1]
                                        ; implicit-def: $vgpr10_vgpr11
	s_and_saveexec_b64 s[2:3], vcc
	s_xor_b64 s[28:29], exec, s[2:3]
	s_cbranch_execz .LBB26_62
; %bb.61:                               ;   in Loop: Header=BB26_55 Depth=1
	s_add_u32 s2, s20, s26
	s_mov_b32 s27, s26
	s_addc_u32 s3, s21, s26
	s_xor_b64 s[30:31], s[2:3], s[26:27]
	v_cvt_f32_u32_e32 v1, s30
	v_cvt_f32_u32_e32 v10, s31
	s_sub_u32 s4, 0, s30
	s_subb_u32 s5, 0, s31
	v_ashrrev_i32_e32 v14, 31, v9
	v_fmac_f32_e32 v1, 0x4f800000, v10
	v_rcp_f32_e32 v1, v1
	v_mov_b32_e32 v15, v14
	v_lshl_add_u64 v[8:9], v[8:9], 0, v[14:15]
	v_xor_b32_e32 v13, v8, v14
	v_mul_f32_e32 v1, 0x5f7ffffc, v1
	v_mul_f32_e32 v10, 0x2f800000, v1
	v_trunc_f32_e32 v10, v10
	v_fmac_f32_e32 v1, 0xcf800000, v10
	v_cvt_u32_f32_e32 v10, v10
	v_cvt_u32_f32_e32 v1, v1
	v_mov_b32_e32 v11, v0
	v_readfirstlane_b32 s23, v10
	v_readfirstlane_b32 s2, v1
	s_mul_i32 s3, s4, s23
	s_mul_hi_u32 s33, s4, s2
	s_mul_i32 s27, s5, s2
	s_add_i32 s3, s33, s3
	s_add_i32 s3, s3, s27
	s_mul_i32 s34, s4, s2
	s_mul_i32 s33, s2, s3
	s_mul_hi_u32 s35, s2, s34
	s_mul_hi_u32 s27, s2, s3
	s_add_u32 s33, s35, s33
	s_addc_u32 s27, 0, s27
	s_mul_hi_u32 s36, s23, s34
	s_mul_i32 s34, s23, s34
	s_add_u32 s33, s33, s34
	s_mul_hi_u32 s35, s23, s3
	s_addc_u32 s27, s27, s36
	s_addc_u32 s33, s35, 0
	s_mul_i32 s3, s23, s3
	s_add_u32 s3, s27, s3
	s_addc_u32 s27, 0, s33
	s_add_u32 s33, s2, s3
	s_cselect_b64 s[2:3], -1, 0
	s_cmp_lg_u64 s[2:3], 0
	s_addc_u32 s23, s23, s27
	s_mul_i32 s2, s4, s23
	s_mul_hi_u32 s3, s4, s33
	s_add_i32 s2, s3, s2
	s_mul_i32 s5, s5, s33
	s_add_i32 s2, s2, s5
	s_mul_i32 s4, s4, s33
	s_mul_hi_u32 s5, s23, s4
	s_mul_i32 s27, s23, s4
	s_mul_i32 s35, s33, s2
	s_mul_hi_u32 s4, s33, s4
	s_mul_hi_u32 s34, s33, s2
	s_add_u32 s4, s4, s35
	s_addc_u32 s34, 0, s34
	s_add_u32 s4, s4, s27
	s_mul_hi_u32 s3, s23, s2
	s_addc_u32 s4, s34, s5
	s_addc_u32 s3, s3, 0
	s_mul_i32 s2, s23, s2
	s_add_u32 s2, s4, s2
	s_addc_u32 s4, 0, s3
	s_add_u32 s5, s33, s2
	s_cselect_b64 s[2:3], -1, 0
	s_cmp_lg_u64 s[2:3], 0
	s_addc_u32 s4, s23, s4
	v_xor_b32_e32 v1, v9, v14
	v_mad_u64_u32 v[8:9], s[2:3], v13, s4, 0
	v_mul_hi_u32 v10, v13, s5
	v_lshl_add_u64 v[8:9], v[10:11], 0, v[8:9]
	v_mad_u64_u32 v[16:17], s[2:3], v1, s5, 0
	v_add_co_u32_e32 v8, vcc, v8, v16
	v_mad_u64_u32 v[10:11], s[2:3], v1, s4, 0
	s_nop 0
	v_addc_co_u32_e32 v8, vcc, v9, v17, vcc
	v_mov_b32_e32 v9, v0
	s_nop 0
	v_addc_co_u32_e32 v11, vcc, 0, v11, vcc
	v_lshl_add_u64 v[8:9], v[8:9], 0, v[10:11]
	v_mul_lo_u32 v10, s31, v8
	v_mul_lo_u32 v11, s30, v9
	v_mad_u64_u32 v[8:9], s[2:3], s30, v8, 0
	v_add3_u32 v9, v9, v11, v10
	v_sub_u32_e32 v10, v1, v9
	v_mov_b32_e32 v11, s31
	v_sub_co_u32_e32 v8, vcc, v13, v8
	s_nop 1
	v_subb_co_u32_e64 v10, s[2:3], v10, v11, vcc
	v_subrev_co_u32_e64 v13, s[2:3], s30, v8
	v_subb_co_u32_e32 v1, vcc, v1, v9, vcc
	s_nop 0
	v_subbrev_co_u32_e64 v15, s[4:5], 0, v10, s[2:3]
	v_cmp_le_u32_e64 s[4:5], s31, v15
	v_subb_co_u32_e64 v10, s[2:3], v10, v11, s[2:3]
	s_nop 0
	v_cndmask_b32_e64 v16, 0, -1, s[4:5]
	v_cmp_le_u32_e64 s[4:5], s30, v13
	v_subrev_co_u32_e64 v11, s[2:3], s30, v13
	s_nop 0
	v_cndmask_b32_e64 v17, 0, -1, s[4:5]
	v_cmp_eq_u32_e64 s[4:5], s31, v15
	v_subbrev_co_u32_e64 v10, s[2:3], 0, v10, s[2:3]
	s_nop 0
	v_cndmask_b32_e64 v16, v16, v17, s[4:5]
	v_cmp_le_u32_e32 vcc, s31, v1
	v_cmp_ne_u32_e64 s[2:3], 0, v16
	s_nop 0
	v_cndmask_b32_e64 v9, 0, -1, vcc
	v_cmp_le_u32_e32 vcc, s30, v8
	v_cndmask_b32_e64 v10, v15, v10, s[2:3]
	s_nop 0
	v_cndmask_b32_e64 v15, 0, -1, vcc
	v_cmp_eq_u32_e32 vcc, s31, v1
	s_nop 1
	v_cndmask_b32_e32 v9, v9, v15, vcc
	v_cmp_ne_u32_e32 vcc, 0, v9
	v_cndmask_b32_e64 v9, v13, v11, s[2:3]
	s_nop 0
	v_cndmask_b32_e32 v8, v8, v9, vcc
	v_cndmask_b32_e32 v1, v1, v10, vcc
	v_xor_b32_e32 v8, v8, v14
	v_xor_b32_e32 v1, v1, v14
	v_sub_co_u32_e32 v10, vcc, v8, v14
                                        ; implicit-def: $vgpr8_vgpr9
	s_nop 1
	v_subb_co_u32_e32 v11, vcc, v1, v14, vcc
.LBB26_62:                              ;   in Loop: Header=BB26_55 Depth=1
	s_andn2_saveexec_b64 s[2:3], s[28:29]
	s_cbranch_execz .LBB26_53
; %bb.63:                               ;   in Loop: Header=BB26_55 Depth=1
	v_cvt_f32_u32_e32 v1, s20
	s_sub_i32 s4, 0, s20
	v_mov_b32_e32 v11, v0
	v_rcp_iflag_f32_e32 v1, v1
	s_nop 0
	v_mul_f32_e32 v1, 0x4f7ffffe, v1
	v_cvt_u32_f32_e32 v1, v1
	v_mul_lo_u32 v9, s4, v1
	v_mul_hi_u32 v9, v1, v9
	v_add_u32_e32 v1, v1, v9
	v_mul_hi_u32 v1, v8, v1
	v_mul_lo_u32 v1, v1, s20
	v_sub_u32_e32 v1, v8, v1
	v_subrev_u32_e32 v8, s20, v1
	v_cmp_le_u32_e32 vcc, s20, v1
	s_nop 1
	v_cndmask_b32_e32 v1, v1, v8, vcc
	v_subrev_u32_e32 v8, s20, v1
	v_cmp_le_u32_e32 vcc, s20, v1
	s_nop 1
	v_cndmask_b32_e32 v10, v1, v8, vcc
	s_branch .LBB26_53
.LBB26_64:
	s_endpgm
	.section	.rodata,"a",@progbits
	.p2align	6, 0x0
	.amdhsa_kernel _ZN2at6native12_GLOBAL__N_121reflection_pad1d_flatIaEEvPKT_PS3_lllll
		.amdhsa_group_segment_fixed_size 0
		.amdhsa_private_segment_fixed_size 0
		.amdhsa_kernarg_size 312
		.amdhsa_user_sgpr_count 2
		.amdhsa_user_sgpr_dispatch_ptr 0
		.amdhsa_user_sgpr_queue_ptr 0
		.amdhsa_user_sgpr_kernarg_segment_ptr 1
		.amdhsa_user_sgpr_dispatch_id 0
		.amdhsa_user_sgpr_kernarg_preload_length 0
		.amdhsa_user_sgpr_kernarg_preload_offset 0
		.amdhsa_user_sgpr_private_segment_size 0
		.amdhsa_uses_dynamic_stack 0
		.amdhsa_enable_private_segment 0
		.amdhsa_system_sgpr_workgroup_id_x 1
		.amdhsa_system_sgpr_workgroup_id_y 0
		.amdhsa_system_sgpr_workgroup_id_z 0
		.amdhsa_system_sgpr_workgroup_info 0
		.amdhsa_system_vgpr_workitem_id 0
		.amdhsa_next_free_vgpr 44
		.amdhsa_next_free_sgpr 83
		.amdhsa_accum_offset 44
		.amdhsa_reserve_vcc 1
		.amdhsa_float_round_mode_32 0
		.amdhsa_float_round_mode_16_64 0
		.amdhsa_float_denorm_mode_32 3
		.amdhsa_float_denorm_mode_16_64 3
		.amdhsa_dx10_clamp 1
		.amdhsa_ieee_mode 1
		.amdhsa_fp16_overflow 0
		.amdhsa_tg_split 0
		.amdhsa_exception_fp_ieee_invalid_op 0
		.amdhsa_exception_fp_denorm_src 0
		.amdhsa_exception_fp_ieee_div_zero 0
		.amdhsa_exception_fp_ieee_overflow 0
		.amdhsa_exception_fp_ieee_underflow 0
		.amdhsa_exception_fp_ieee_inexact 0
		.amdhsa_exception_int_div_zero 0
	.end_amdhsa_kernel
	.section	.text._ZN2at6native12_GLOBAL__N_121reflection_pad1d_flatIaEEvPKT_PS3_lllll,"axG",@progbits,_ZN2at6native12_GLOBAL__N_121reflection_pad1d_flatIaEEvPKT_PS3_lllll,comdat
.Lfunc_end26:
	.size	_ZN2at6native12_GLOBAL__N_121reflection_pad1d_flatIaEEvPKT_PS3_lllll, .Lfunc_end26-_ZN2at6native12_GLOBAL__N_121reflection_pad1d_flatIaEEvPKT_PS3_lllll
                                        ; -- End function
	.set _ZN2at6native12_GLOBAL__N_121reflection_pad1d_flatIaEEvPKT_PS3_lllll.num_vgpr, 44
	.set _ZN2at6native12_GLOBAL__N_121reflection_pad1d_flatIaEEvPKT_PS3_lllll.num_agpr, 0
	.set _ZN2at6native12_GLOBAL__N_121reflection_pad1d_flatIaEEvPKT_PS3_lllll.numbered_sgpr, 83
	.set _ZN2at6native12_GLOBAL__N_121reflection_pad1d_flatIaEEvPKT_PS3_lllll.num_named_barrier, 0
	.set _ZN2at6native12_GLOBAL__N_121reflection_pad1d_flatIaEEvPKT_PS3_lllll.private_seg_size, 0
	.set _ZN2at6native12_GLOBAL__N_121reflection_pad1d_flatIaEEvPKT_PS3_lllll.uses_vcc, 1
	.set _ZN2at6native12_GLOBAL__N_121reflection_pad1d_flatIaEEvPKT_PS3_lllll.uses_flat_scratch, 0
	.set _ZN2at6native12_GLOBAL__N_121reflection_pad1d_flatIaEEvPKT_PS3_lllll.has_dyn_sized_stack, 0
	.set _ZN2at6native12_GLOBAL__N_121reflection_pad1d_flatIaEEvPKT_PS3_lllll.has_recursion, 0
	.set _ZN2at6native12_GLOBAL__N_121reflection_pad1d_flatIaEEvPKT_PS3_lllll.has_indirect_call, 0
	.section	.AMDGPU.csdata,"",@progbits
; Kernel info:
; codeLenInByte = 10428
; TotalNumSgprs: 89
; NumVgprs: 44
; NumAgprs: 0
; TotalNumVgprs: 44
; ScratchSize: 0
; MemoryBound: 0
; FloatMode: 240
; IeeeMode: 1
; LDSByteSize: 0 bytes/workgroup (compile time only)
; SGPRBlocks: 11
; VGPRBlocks: 5
; NumSGPRsForWavesPerEU: 89
; NumVGPRsForWavesPerEU: 44
; AccumOffset: 44
; Occupancy: 8
; WaveLimiterHint : 0
; COMPUTE_PGM_RSRC2:SCRATCH_EN: 0
; COMPUTE_PGM_RSRC2:USER_SGPR: 2
; COMPUTE_PGM_RSRC2:TRAP_HANDLER: 0
; COMPUTE_PGM_RSRC2:TGID_X_EN: 1
; COMPUTE_PGM_RSRC2:TGID_Y_EN: 0
; COMPUTE_PGM_RSRC2:TGID_Z_EN: 0
; COMPUTE_PGM_RSRC2:TIDIG_COMP_CNT: 0
; COMPUTE_PGM_RSRC3_GFX90A:ACCUM_OFFSET: 10
; COMPUTE_PGM_RSRC3_GFX90A:TG_SPLIT: 0
	.section	.text._ZN2at6native12_GLOBAL__N_127reflection_pad1d_out_kernelIiEEvPKT_PS3_lll,"axG",@progbits,_ZN2at6native12_GLOBAL__N_127reflection_pad1d_out_kernelIiEEvPKT_PS3_lll,comdat
	.globl	_ZN2at6native12_GLOBAL__N_127reflection_pad1d_out_kernelIiEEvPKT_PS3_lll ; -- Begin function _ZN2at6native12_GLOBAL__N_127reflection_pad1d_out_kernelIiEEvPKT_PS3_lll
	.p2align	8
	.type	_ZN2at6native12_GLOBAL__N_127reflection_pad1d_out_kernelIiEEvPKT_PS3_lll,@function
_ZN2at6native12_GLOBAL__N_127reflection_pad1d_out_kernelIiEEvPKT_PS3_lll: ; @_ZN2at6native12_GLOBAL__N_127reflection_pad1d_out_kernelIiEEvPKT_PS3_lll
; %bb.0:
	s_load_dword s5, s[0:1], 0x34
	s_load_dwordx2 s[16:17], s[0:1], 0x20
	s_load_dwordx8 s[8:15], s[0:1], 0x0
	s_add_u32 s6, s0, 40
	s_addc_u32 s7, s1, 0
	s_waitcnt lgkmcnt(0)
	s_and_b32 s0, s5, 0xffff
	v_mov_b32_e32 v1, 0
	v_mov_b32_e32 v2, s2
	s_add_u32 s2, s14, s12
	v_mad_u64_u32 v[0:1], s[0:1], s0, v2, v[0:1]
	s_addc_u32 s5, s15, s13
	s_add_u32 s0, s2, s16
	s_addc_u32 s1, s5, s17
	v_cmp_gt_i64_e32 vcc, s[0:1], v[0:1]
	s_and_saveexec_b64 s[16:17], vcc
	s_cbranch_execz .LBB27_2
; %bb.1:
	s_load_dword s16, s[6:7], 0x4
	s_sub_u32 s6, 0, s14
	v_mov_b32_e32 v4, s15
	v_subrev_co_u32_e32 v5, vcc, s14, v0
	s_waitcnt lgkmcnt(0)
	s_mul_i32 s4, s16, s4
	s_subb_u32 s7, 0, s15
	s_add_i32 s4, s4, s3
	v_subb_co_u32_e32 v4, vcc, v1, v4, vcc
	v_mov_b32_e32 v2, s8
	s_mul_i32 s3, s13, s4
	s_mul_hi_u32 s8, s12, s4
	v_ashrrev_i32_e32 v6, 31, v4
	v_mov_b32_e32 v3, s9
	s_add_i32 s9, s8, s3
	s_mul_i32 s1, s1, s4
	s_mul_hi_u32 s3, s0, s4
	v_xor_b32_e32 v7, v4, v6
	v_xor_b32_e32 v4, v5, v6
	s_mul_i32 s8, s12, s4
	s_add_i32 s1, s3, s1
	v_cmp_gt_i64_e64 s[12:13], s[6:7], 0
	v_sub_co_u32_e32 v4, vcc, v4, v6
	s_and_b64 s[12:13], s[12:13], exec
	s_nop 0
	v_subb_co_u32_e32 v5, vcc, v7, v6, vcc
	s_cselect_b32 s12, s7, 0
	s_cselect_b32 s13, s6, 0
	v_cmp_gt_i64_e64 s[6:7], s[14:15], 0
	v_mov_b32_e32 v7, s5
	v_subrev_co_u32_e32 v6, vcc, s2, v0
	s_and_b64 s[6:7], s[6:7], exec
	s_nop 0
	v_subb_co_u32_e32 v7, vcc, v1, v7, vcc
	s_cselect_b32 s7, s15, 0
	s_cselect_b32 s6, s14, 0
	v_lshl_add_u64 v[6:7], v[6:7], 0, 1
	s_add_u32 s14, s2, s14
	v_ashrrev_i32_e32 v8, 31, v7
	s_addc_u32 s5, s5, s15
	s_not_b64 s[2:3], s[6:7]
	v_xor_b32_e32 v6, v6, v8
	s_add_u32 s2, s14, s2
	v_xor_b32_e32 v7, v7, v8
	v_sub_co_u32_e32 v6, vcc, v6, v8
	s_addc_u32 s3, s5, s3
	s_nop 0
	v_subb_co_u32_e32 v7, vcc, v7, v8, vcc
	s_add_u32 s2, s2, s13
	v_lshl_add_u64 v[6:7], v[0:1], 0, v[6:7]
	s_addc_u32 s3, s3, s12
	v_mov_b32_e32 v8, s3
	v_sub_co_u32_e32 v6, vcc, s2, v6
	s_mul_i32 s0, s0, s4
	s_nop 0
	v_subb_co_u32_e32 v7, vcc, v8, v7, vcc
	v_lshl_add_u64 v[2:3], v[6:7], 2, v[2:3]
	v_lshl_add_u64 v[2:3], v[4:5], 2, v[2:3]
	;; [unrolled: 1-line block ×3, first 2 shown]
	global_load_dword v2, v[2:3], off
	s_lshl_b64 s[0:1], s[0:1], 2
	s_add_u32 s0, s10, s0
	s_addc_u32 s1, s11, s1
	v_lshl_add_u64 v[0:1], v[0:1], 2, s[0:1]
	s_waitcnt vmcnt(0)
	global_store_dword v[0:1], v2, off
.LBB27_2:
	s_endpgm
	.section	.rodata,"a",@progbits
	.p2align	6, 0x0
	.amdhsa_kernel _ZN2at6native12_GLOBAL__N_127reflection_pad1d_out_kernelIiEEvPKT_PS3_lll
		.amdhsa_group_segment_fixed_size 0
		.amdhsa_private_segment_fixed_size 0
		.amdhsa_kernarg_size 296
		.amdhsa_user_sgpr_count 2
		.amdhsa_user_sgpr_dispatch_ptr 0
		.amdhsa_user_sgpr_queue_ptr 0
		.amdhsa_user_sgpr_kernarg_segment_ptr 1
		.amdhsa_user_sgpr_dispatch_id 0
		.amdhsa_user_sgpr_kernarg_preload_length 0
		.amdhsa_user_sgpr_kernarg_preload_offset 0
		.amdhsa_user_sgpr_private_segment_size 0
		.amdhsa_uses_dynamic_stack 0
		.amdhsa_enable_private_segment 0
		.amdhsa_system_sgpr_workgroup_id_x 1
		.amdhsa_system_sgpr_workgroup_id_y 1
		.amdhsa_system_sgpr_workgroup_id_z 1
		.amdhsa_system_sgpr_workgroup_info 0
		.amdhsa_system_vgpr_workitem_id 0
		.amdhsa_next_free_vgpr 9
		.amdhsa_next_free_sgpr 18
		.amdhsa_accum_offset 12
		.amdhsa_reserve_vcc 1
		.amdhsa_float_round_mode_32 0
		.amdhsa_float_round_mode_16_64 0
		.amdhsa_float_denorm_mode_32 3
		.amdhsa_float_denorm_mode_16_64 3
		.amdhsa_dx10_clamp 1
		.amdhsa_ieee_mode 1
		.amdhsa_fp16_overflow 0
		.amdhsa_tg_split 0
		.amdhsa_exception_fp_ieee_invalid_op 0
		.amdhsa_exception_fp_denorm_src 0
		.amdhsa_exception_fp_ieee_div_zero 0
		.amdhsa_exception_fp_ieee_overflow 0
		.amdhsa_exception_fp_ieee_underflow 0
		.amdhsa_exception_fp_ieee_inexact 0
		.amdhsa_exception_int_div_zero 0
	.end_amdhsa_kernel
	.section	.text._ZN2at6native12_GLOBAL__N_127reflection_pad1d_out_kernelIiEEvPKT_PS3_lll,"axG",@progbits,_ZN2at6native12_GLOBAL__N_127reflection_pad1d_out_kernelIiEEvPKT_PS3_lll,comdat
.Lfunc_end27:
	.size	_ZN2at6native12_GLOBAL__N_127reflection_pad1d_out_kernelIiEEvPKT_PS3_lll, .Lfunc_end27-_ZN2at6native12_GLOBAL__N_127reflection_pad1d_out_kernelIiEEvPKT_PS3_lll
                                        ; -- End function
	.set _ZN2at6native12_GLOBAL__N_127reflection_pad1d_out_kernelIiEEvPKT_PS3_lll.num_vgpr, 9
	.set _ZN2at6native12_GLOBAL__N_127reflection_pad1d_out_kernelIiEEvPKT_PS3_lll.num_agpr, 0
	.set _ZN2at6native12_GLOBAL__N_127reflection_pad1d_out_kernelIiEEvPKT_PS3_lll.numbered_sgpr, 18
	.set _ZN2at6native12_GLOBAL__N_127reflection_pad1d_out_kernelIiEEvPKT_PS3_lll.num_named_barrier, 0
	.set _ZN2at6native12_GLOBAL__N_127reflection_pad1d_out_kernelIiEEvPKT_PS3_lll.private_seg_size, 0
	.set _ZN2at6native12_GLOBAL__N_127reflection_pad1d_out_kernelIiEEvPKT_PS3_lll.uses_vcc, 1
	.set _ZN2at6native12_GLOBAL__N_127reflection_pad1d_out_kernelIiEEvPKT_PS3_lll.uses_flat_scratch, 0
	.set _ZN2at6native12_GLOBAL__N_127reflection_pad1d_out_kernelIiEEvPKT_PS3_lll.has_dyn_sized_stack, 0
	.set _ZN2at6native12_GLOBAL__N_127reflection_pad1d_out_kernelIiEEvPKT_PS3_lll.has_recursion, 0
	.set _ZN2at6native12_GLOBAL__N_127reflection_pad1d_out_kernelIiEEvPKT_PS3_lll.has_indirect_call, 0
	.section	.AMDGPU.csdata,"",@progbits
; Kernel info:
; codeLenInByte = 400
; TotalNumSgprs: 24
; NumVgprs: 9
; NumAgprs: 0
; TotalNumVgprs: 9
; ScratchSize: 0
; MemoryBound: 0
; FloatMode: 240
; IeeeMode: 1
; LDSByteSize: 0 bytes/workgroup (compile time only)
; SGPRBlocks: 2
; VGPRBlocks: 1
; NumSGPRsForWavesPerEU: 24
; NumVGPRsForWavesPerEU: 9
; AccumOffset: 12
; Occupancy: 8
; WaveLimiterHint : 0
; COMPUTE_PGM_RSRC2:SCRATCH_EN: 0
; COMPUTE_PGM_RSRC2:USER_SGPR: 2
; COMPUTE_PGM_RSRC2:TRAP_HANDLER: 0
; COMPUTE_PGM_RSRC2:TGID_X_EN: 1
; COMPUTE_PGM_RSRC2:TGID_Y_EN: 1
; COMPUTE_PGM_RSRC2:TGID_Z_EN: 1
; COMPUTE_PGM_RSRC2:TIDIG_COMP_CNT: 0
; COMPUTE_PGM_RSRC3_GFX90A:ACCUM_OFFSET: 2
; COMPUTE_PGM_RSRC3_GFX90A:TG_SPLIT: 0
	.section	.text._ZN2at6native12_GLOBAL__N_121reflection_pad1d_flatIiEEvPKT_PS3_lllll,"axG",@progbits,_ZN2at6native12_GLOBAL__N_121reflection_pad1d_flatIiEEvPKT_PS3_lllll,comdat
	.globl	_ZN2at6native12_GLOBAL__N_121reflection_pad1d_flatIiEEvPKT_PS3_lllll ; -- Begin function _ZN2at6native12_GLOBAL__N_121reflection_pad1d_flatIiEEvPKT_PS3_lllll
	.p2align	8
	.type	_ZN2at6native12_GLOBAL__N_121reflection_pad1d_flatIiEEvPKT_PS3_lllll,@function
_ZN2at6native12_GLOBAL__N_121reflection_pad1d_flatIiEEvPKT_PS3_lllll: ; @_ZN2at6native12_GLOBAL__N_121reflection_pad1d_flatIiEEvPKT_PS3_lllll
; %bb.0:
	s_load_dword s3, s[0:1], 0x44
	s_load_dwordx4 s[8:11], s[0:1], 0x28
	s_add_u32 s4, s0, 56
	s_addc_u32 s5, s1, 0
	v_mov_b32_e32 v1, 0
	s_waitcnt lgkmcnt(0)
	s_and_b32 s3, s3, 0xffff
	s_mul_i32 s6, s10, s9
	s_mul_hi_u32 s7, s10, s8
	s_add_i32 s6, s7, s6
	s_mul_i32 s7, s11, s8
	v_mov_b32_e32 v2, s2
	s_add_i32 s7, s6, s7
	s_mul_i32 s6, s10, s8
	v_mad_u64_u32 v[2:3], s[10:11], s3, v2, v[0:1]
	v_cmp_gt_i64_e32 vcc, s[6:7], v[2:3]
	s_and_saveexec_b64 s[10:11], vcc
	s_cbranch_execz .LBB28_44
; %bb.1:
	s_load_dword s4, s[4:5], 0x0
	v_mov_b32_e32 v4, s3
	s_mov_b32 s12, 0
	v_mov_b32_e32 v5, s12
	s_waitcnt lgkmcnt(0)
	s_add_u32 s30, s2, s4
	s_addc_u32 s31, 0, 0
	s_mul_hi_u32 s11, s3, s4
	s_mul_i32 s10, s3, s4
	s_mul_i32 s31, s31, s3
	v_mad_u64_u32 v[6:7], s[4:5], s30, v4, v[0:1]
	v_add_u32_e32 v7, s31, v7
	v_mov_b32_e32 v4, s7
	v_cmp_gt_i64_e32 vcc, s[6:7], v[6:7]
	s_nop 1
	v_cndmask_b32_e32 v9, v7, v4, vcc
	v_mov_b32_e32 v4, s6
	v_cndmask_b32_e32 v8, v6, v4, vcc
	v_cndmask_b32_e64 v4, 0, 1, vcc
	v_lshl_add_u64 v[6:7], v[6:7], 0, v[4:5]
	v_sub_co_u32_e32 v8, vcc, v8, v6
	v_mov_b32_e32 v6, v1
	s_nop 0
	v_subb_co_u32_e32 v9, vcc, v9, v7, vcc
	v_or_b32_e32 v7, s11, v9
	v_cmp_ne_u64_e32 vcc, 0, v[6:7]
                                        ; implicit-def: $vgpr6_vgpr7
	s_and_saveexec_b64 s[4:5], vcc
	s_xor_b64 s[12:13], exec, s[4:5]
	s_cbranch_execz .LBB28_3
; %bb.2:
	v_cvt_f32_u32_e32 v1, s10
	v_cvt_f32_u32_e32 v6, s11
	s_sub_u32 s14, 0, s10
	s_subb_u32 s15, 0, s11
	v_mov_b32_e32 v11, 0
	v_fmamk_f32 v1, v6, 0x4f800000, v1
	v_rcp_f32_e32 v1, v1
	s_nop 0
	v_mul_f32_e32 v1, 0x5f7ffffc, v1
	v_mul_f32_e32 v6, 0x2f800000, v1
	v_trunc_f32_e32 v6, v6
	v_fmamk_f32 v1, v6, 0xcf800000, v1
	v_cvt_u32_f32_e32 v6, v6
	v_cvt_u32_f32_e32 v1, v1
	v_readfirstlane_b32 s16, v6
	v_readfirstlane_b32 s4, v1
	s_mul_i32 s5, s14, s16
	s_mul_hi_u32 s18, s14, s4
	s_mul_i32 s17, s15, s4
	s_add_i32 s5, s18, s5
	s_mul_i32 s19, s14, s4
	s_add_i32 s5, s5, s17
	s_mul_i32 s18, s4, s5
	s_mul_hi_u32 s20, s4, s19
	s_mul_hi_u32 s17, s4, s5
	s_add_u32 s18, s20, s18
	s_addc_u32 s17, 0, s17
	s_mul_hi_u32 s21, s16, s19
	s_mul_i32 s19, s16, s19
	s_add_u32 s18, s18, s19
	s_mul_hi_u32 s20, s16, s5
	s_addc_u32 s17, s17, s21
	s_addc_u32 s18, s20, 0
	s_mul_i32 s5, s16, s5
	s_add_u32 s5, s17, s5
	s_addc_u32 s17, 0, s18
	s_add_u32 s18, s4, s5
	s_cselect_b64 s[4:5], -1, 0
	s_cmp_lg_u64 s[4:5], 0
	s_addc_u32 s16, s16, s17
	s_mul_i32 s4, s14, s16
	s_mul_hi_u32 s5, s14, s18
	s_add_i32 s4, s5, s4
	s_mul_i32 s15, s15, s18
	s_add_i32 s4, s4, s15
	s_mul_i32 s14, s14, s18
	s_mul_hi_u32 s15, s16, s14
	s_mul_i32 s17, s16, s14
	s_mul_i32 s20, s18, s4
	s_mul_hi_u32 s14, s18, s14
	s_mul_hi_u32 s19, s18, s4
	s_add_u32 s14, s14, s20
	s_addc_u32 s19, 0, s19
	s_add_u32 s14, s14, s17
	s_mul_hi_u32 s5, s16, s4
	s_addc_u32 s14, s19, s15
	s_addc_u32 s5, s5, 0
	s_mul_i32 s4, s16, s4
	s_add_u32 s4, s14, s4
	s_addc_u32 s14, 0, s5
	s_add_u32 s15, s18, s4
	s_cselect_b64 s[4:5], -1, 0
	s_cmp_lg_u64 s[4:5], 0
	s_addc_u32 s14, s16, s14
	v_mad_u64_u32 v[6:7], s[4:5], v8, s14, 0
	v_mul_hi_u32 v10, v8, s15
	v_lshl_add_u64 v[6:7], v[10:11], 0, v[6:7]
	v_mad_u64_u32 v[14:15], s[4:5], v9, s15, 0
	v_add_co_u32_e32 v1, vcc, v6, v14
	v_mad_u64_u32 v[12:13], s[4:5], v9, s14, 0
	s_nop 0
	v_addc_co_u32_e32 v10, vcc, v7, v15, vcc
	s_nop 1
	v_addc_co_u32_e32 v13, vcc, 0, v13, vcc
	v_lshl_add_u64 v[6:7], v[10:11], 0, v[12:13]
	v_mul_lo_u32 v1, s11, v6
	v_mul_lo_u32 v12, s10, v7
	v_mad_u64_u32 v[10:11], s[4:5], s10, v6, 0
	v_add3_u32 v1, v11, v12, v1
	v_sub_u32_e32 v11, v9, v1
	v_mov_b32_e32 v12, s11
	v_sub_co_u32_e32 v8, vcc, v8, v10
	s_nop 1
	v_subb_co_u32_e64 v10, s[4:5], v11, v12, vcc
	v_subrev_co_u32_e64 v11, s[4:5], s10, v8
	v_subb_co_u32_e32 v1, vcc, v9, v1, vcc
	s_nop 0
	v_subbrev_co_u32_e64 v10, s[4:5], 0, v10, s[4:5]
	v_cmp_le_u32_e64 s[4:5], s11, v10
	v_cmp_le_u32_e32 vcc, s11, v1
	s_nop 0
	v_cndmask_b32_e64 v12, 0, -1, s[4:5]
	v_cmp_le_u32_e64 s[4:5], s10, v11
	v_cndmask_b32_e64 v9, 0, -1, vcc
	v_cmp_le_u32_e32 vcc, s10, v8
	v_cndmask_b32_e64 v11, 0, -1, s[4:5]
	v_cmp_eq_u32_e64 s[4:5], s11, v10
	v_cndmask_b32_e64 v8, 0, -1, vcc
	v_cmp_eq_u32_e32 vcc, s11, v1
	v_cndmask_b32_e64 v14, v12, v11, s[4:5]
	v_lshl_add_u64 v[10:11], v[6:7], 0, 2
	v_lshl_add_u64 v[12:13], v[6:7], 0, 1
	v_cmp_ne_u32_e64 s[4:5], 0, v14
	v_cndmask_b32_e32 v1, v9, v8, vcc
	v_cmp_ne_u32_e32 vcc, 0, v1
	v_cndmask_b32_e64 v11, v13, v11, s[4:5]
	v_cndmask_b32_e64 v1, v12, v10, s[4:5]
	v_cndmask_b32_e32 v7, v7, v11, vcc
	v_cndmask_b32_e32 v6, v6, v1, vcc
                                        ; implicit-def: $vgpr8
.LBB28_3:
	s_or_saveexec_b64 s[4:5], s[12:13]
	s_load_dwordx4 s[12:15], s[0:1], 0x0
	s_xor_b64 exec, exec, s[4:5]
	s_cbranch_execz .LBB28_5
; %bb.4:
	v_cvt_f32_u32_e32 v1, s10
	s_sub_i32 s16, 0, s10
	v_rcp_iflag_f32_e32 v1, v1
	s_nop 0
	v_mul_f32_e32 v1, 0x4f7ffffe, v1
	v_cvt_u32_f32_e32 v1, v1
	v_mul_lo_u32 v6, s16, v1
	v_mul_hi_u32 v6, v1, v6
	v_add_u32_e32 v1, v1, v6
	v_mul_hi_u32 v1, v8, v1
	v_mul_lo_u32 v6, v1, s10
	v_sub_u32_e32 v6, v8, v6
	v_add_u32_e32 v7, 1, v1
	v_subrev_u32_e32 v8, s10, v6
	v_cmp_le_u32_e32 vcc, s10, v6
	s_nop 1
	v_cndmask_b32_e32 v6, v6, v8, vcc
	v_cndmask_b32_e32 v1, v1, v7, vcc
	v_add_u32_e32 v7, 1, v1
	v_cmp_le_u32_e32 vcc, s10, v6
	s_nop 1
	v_cndmask_b32_e32 v6, v1, v7, vcc
	v_mov_b32_e32 v7, 0
.LBB28_5:
	s_or_b64 exec, exec, s[4:5]
	s_load_dwordx4 s[16:19], s[0:1], 0x10
	v_lshl_add_u64 v[4:5], v[6:7], 0, v[4:5]
	v_lshl_add_u64 v[12:13], v[4:5], 0, 1
	s_mov_b64 s[0:1], 0
	v_cmp_lt_u64_e32 vcc, 1, v[12:13]
	s_waitcnt lgkmcnt(0)
	s_lshl_b64 s[4:5], s[16:17], 1
	s_add_u32 s20, s4, -2
	s_addc_u32 s21, s5, -1
	v_cmp_lt_i64_e64 s[26:27], s[20:21], 1
	v_cmp_gt_i64_e64 s[22:23], s[20:21], 0
                                        ; implicit-def: $vgpr4_vgpr5
                                        ; implicit-def: $vgpr6_vgpr7
	s_and_saveexec_b64 s[4:5], vcc
	s_xor_b64 s[24:25], exec, s[4:5]
	s_cbranch_execnz .LBB28_8
; %bb.6:
	s_andn2_saveexec_b64 s[2:3], s[24:25]
	s_cbranch_execnz .LBB28_31
.LBB28_7:
	s_or_b64 exec, exec, s[2:3]
	s_and_b64 exec, exec, s[0:1]
	s_cbranch_execnz .LBB28_32
	s_branch .LBB28_44
.LBB28_8:
	s_mul_hi_u32 s0, s30, s3
	s_add_i32 s31, s0, s31
	s_xor_b64 s[34:35], s[26:27], -1
	v_lshl_add_u64 v[4:5], v[2:3], 0, s[10:11]
	s_lshl_b64 s[42:43], s[10:11], 1
	v_and_b32_e32 v14, -2, v12
	v_mov_b32_e32 v15, v13
	s_sub_u32 s40, 0, s8
	v_mov_b32_e32 v1, s19
	v_subrev_co_u32_e32 v0, vcc, s18, v0
	v_mov_b64_e32 v[6:7], v[4:5]
	s_mul_hi_u32 s29, s3, s2
	s_mul_i32 s28, s3, s2
	s_mul_i32 s30, s30, s3
	s_mov_b32 s33, s20
	s_mov_b32 s58, s21
	s_mov_b32 s36, s16
	s_mov_b32 s37, s17
	s_mov_b32 s38, s16
	s_mov_b32 s39, s17
	s_mov_b32 s44, s42
	s_mov_b32 s45, s43
	s_mov_b64 s[46:47], 0
	s_subb_u32 s41, 0, s9
	v_subb_co_u32_e32 v1, vcc, 0, v1, vcc
	s_lshl_b64 s[48:49], s[10:11], 2
	v_lshl_add_u64 v[16:17], v[2:3], 2, s[14:15]
	s_lshl_b64 s[50:51], s[10:11], 3
	v_mov_b32_e32 v18, 0
	s_ashr_i32 s52, s9, 31
	v_mov_b64_e32 v[20:21], v[14:15]
	v_mov_b64_e32 v[4:5], v[2:3]
	s_branch .LBB28_11
.LBB28_9:                               ;   in Loop: Header=BB28_11 Depth=1
	s_or_b64 exec, exec, s[0:1]
.LBB28_10:                              ;   in Loop: Header=BB28_11 Depth=1
	v_ashrrev_i32_e32 v19, 31, v11
	v_and_b32_e32 v27, s58, v19
	v_and_b32_e32 v26, s33, v19
	v_ashrrev_i32_e32 v19, 31, v9
	v_lshl_add_u64 v[10:11], v[26:27], 0, v[10:11]
	v_and_b32_e32 v29, s21, v19
	v_and_b32_e32 v28, s20, v19
	v_mov_b32_e32 v19, s58
	v_sub_co_u32_e32 v26, vcc, s33, v10
	v_lshl_add_u64 v[8:9], v[28:29], 0, v[8:9]
	s_nop 0
	v_subb_co_u32_e32 v19, vcc, v19, v11, vcc
	v_mov_b32_e32 v27, s21
	v_sub_co_u32_e32 v28, vcc, s20, v8
	v_lshl_add_u64 v[20:21], v[20:21], 0, -2
	s_nop 0
	v_subb_co_u32_e32 v27, vcc, v27, v9, vcc
	v_cmp_gt_i64_e32 vcc, s[36:37], v[8:9]
	v_lshl_add_u64 v[6:7], v[6:7], 0, s[44:45]
	v_lshl_add_u64 v[4:5], v[4:5], 0, s[42:43]
	v_cndmask_b32_e32 v28, v28, v8, vcc
	v_cndmask_b32_e32 v27, v27, v9, vcc
	v_cmp_gt_i64_e32 vcc, s[38:39], v[10:11]
	v_lshl_add_u64 v[0:1], v[0:1], 0, s[42:43]
	s_nop 0
	v_cndmask_b32_e32 v8, v26, v10, vcc
	v_cndmask_b32_e32 v9, v19, v11, vcc
	v_mul_lo_u32 v19, v25, s38
	v_mul_lo_u32 v26, v24, s39
	v_mad_u64_u32 v[24:25], s[0:1], v24, s38, 0
	v_add3_u32 v25, v25, v26, v19
	v_mul_lo_u32 v19, v23, s36
	v_mul_lo_u32 v26, v22, s37
	v_mad_u64_u32 v[22:23], s[0:1], v22, s36, 0
	v_add3_u32 v23, v23, v26, v19
	v_cndmask_b32_e64 v11, v27, 0, s[26:27]
	v_cndmask_b32_e64 v10, v28, 0, s[26:27]
	v_lshl_add_u64 v[22:23], v[22:23], 2, s[12:13]
	v_cndmask_b32_e64 v9, v9, 0, s[26:27]
	v_cndmask_b32_e64 v8, v8, 0, s[26:27]
	v_lshl_add_u64 v[24:25], v[24:25], 2, s[12:13]
	v_lshl_add_u64 v[10:11], v[10:11], 2, v[22:23]
	;; [unrolled: 1-line block ×3, first 2 shown]
	global_load_dword v19, v[10:11], off
	global_load_dword v22, v[8:9], off
	v_cmp_eq_u64_e32 vcc, 0, v[20:21]
	v_lshl_add_u64 v[8:9], v[16:17], 0, s[48:49]
	s_or_b64 s[46:47], vcc, s[46:47]
	s_waitcnt vmcnt(1)
	global_store_dword v[16:17], v19, off
	s_waitcnt vmcnt(1)
	global_store_dword v[8:9], v22, off
	v_lshl_add_u64 v[16:17], v[16:17], 0, s[50:51]
	s_andn2_b64 exec, exec, s[46:47]
	s_cbranch_execz .LBB28_30
.LBB28_11:                              ; =>This Inner Loop Header: Depth=1
	v_or_b32_e32 v19, s9, v5
	v_cmp_ne_u64_e32 vcc, 0, v[18:19]
                                        ; implicit-def: $vgpr22_vgpr23
	s_and_saveexec_b64 s[0:1], vcc
	s_xor_b64 s[2:3], exec, s[0:1]
	s_cbranch_execz .LBB28_13
; %bb.12:                               ;   in Loop: Header=BB28_11 Depth=1
	s_add_u32 s0, s8, s52
	s_mov_b32 s53, s52
	s_addc_u32 s1, s9, s52
	s_xor_b64 s[4:5], s[0:1], s[52:53]
	v_cvt_f32_u32_e32 v8, s4
	v_cvt_f32_u32_e32 v9, s5
	s_sub_u32 s53, 0, s4
	s_subb_u32 s54, 0, s5
	v_mov_b32_e32 v23, v18
	v_fmac_f32_e32 v8, 0x4f800000, v9
	v_rcp_f32_e32 v8, v8
	s_nop 0
	v_mul_f32_e32 v8, 0x5f7ffffc, v8
	v_mul_f32_e32 v9, 0x2f800000, v8
	v_trunc_f32_e32 v9, v9
	v_fmac_f32_e32 v8, 0xcf800000, v9
	v_cvt_u32_f32_e32 v9, v9
	v_cvt_u32_f32_e32 v8, v8
	v_readfirstlane_b32 s55, v9
	v_readfirstlane_b32 s0, v8
	s_mul_i32 s1, s53, s55
	s_mul_hi_u32 s57, s53, s0
	s_mul_i32 s56, s54, s0
	s_add_i32 s1, s57, s1
	s_add_i32 s1, s1, s56
	s_mul_i32 s59, s53, s0
	s_mul_i32 s57, s0, s1
	s_mul_hi_u32 s60, s0, s59
	s_mul_hi_u32 s56, s0, s1
	s_add_u32 s57, s60, s57
	s_addc_u32 s56, 0, s56
	s_mul_hi_u32 s61, s55, s59
	s_mul_i32 s59, s55, s59
	s_add_u32 s57, s57, s59
	s_mul_hi_u32 s60, s55, s1
	s_addc_u32 s56, s56, s61
	s_addc_u32 s57, s60, 0
	s_mul_i32 s1, s55, s1
	s_add_u32 s1, s56, s1
	s_addc_u32 s56, 0, s57
	s_add_u32 s57, s0, s1
	s_cselect_b64 s[0:1], -1, 0
	s_cmp_lg_u64 s[0:1], 0
	s_addc_u32 s55, s55, s56
	s_mul_i32 s0, s53, s55
	s_mul_hi_u32 s1, s53, s57
	s_add_i32 s0, s1, s0
	s_mul_i32 s54, s54, s57
	s_add_i32 s0, s0, s54
	s_mul_i32 s53, s53, s57
	s_mul_hi_u32 s54, s55, s53
	s_mul_i32 s56, s55, s53
	s_mul_i32 s60, s57, s0
	s_mul_hi_u32 s53, s57, s53
	s_mul_hi_u32 s59, s57, s0
	s_add_u32 s53, s53, s60
	s_addc_u32 s59, 0, s59
	s_add_u32 s53, s53, s56
	s_mul_hi_u32 s1, s55, s0
	s_addc_u32 s53, s59, s54
	s_addc_u32 s1, s1, 0
	s_mul_i32 s0, s55, s0
	s_add_u32 s0, s53, s0
	s_addc_u32 s53, 0, s1
	s_add_u32 s54, s57, s0
	v_ashrrev_i32_e32 v8, 31, v5
	s_cselect_b64 s[0:1], -1, 0
	v_mov_b32_e32 v9, v8
	s_cmp_lg_u64 s[0:1], 0
	v_lshl_add_u64 v[10:11], v[4:5], 0, v[8:9]
	s_addc_u32 s53, s55, s53
	v_xor_b32_e32 v19, v10, v8
	v_xor_b32_e32 v9, v11, v8
	v_mad_u64_u32 v[10:11], s[0:1], v19, s53, 0
	v_mul_hi_u32 v22, v19, s54
	v_lshl_add_u64 v[10:11], v[22:23], 0, v[10:11]
	v_mad_u64_u32 v[24:25], s[0:1], v9, s54, 0
	v_add_co_u32_e32 v10, vcc, v10, v24
	v_mad_u64_u32 v[22:23], s[0:1], v9, s53, 0
	s_nop 0
	v_addc_co_u32_e32 v10, vcc, v11, v25, vcc
	v_mov_b32_e32 v11, v18
	s_nop 0
	v_addc_co_u32_e32 v23, vcc, 0, v23, vcc
	v_lshl_add_u64 v[10:11], v[10:11], 0, v[22:23]
	v_mul_lo_u32 v24, s5, v10
	v_mul_lo_u32 v25, s4, v11
	v_mad_u64_u32 v[22:23], s[0:1], s4, v10, 0
	v_add3_u32 v26, v23, v25, v24
	v_sub_u32_e32 v23, v9, v26
	v_mov_b32_e32 v24, s5
	v_sub_co_u32_e32 v19, vcc, v19, v22
	v_xor_b32_e32 v8, s52, v8
	s_nop 0
	v_subb_co_u32_e64 v22, s[0:1], v23, v24, vcc
	v_subrev_co_u32_e64 v23, s[0:1], s4, v19
	v_subb_co_u32_e32 v9, vcc, v9, v26, vcc
	s_nop 0
	v_subbrev_co_u32_e64 v22, s[0:1], 0, v22, s[0:1]
	v_cmp_le_u32_e64 s[0:1], s5, v22
	v_cmp_le_u32_e32 vcc, s5, v9
	s_nop 0
	v_cndmask_b32_e64 v24, 0, -1, s[0:1]
	v_cmp_le_u32_e64 s[0:1], s4, v23
	s_nop 1
	v_cndmask_b32_e64 v23, 0, -1, s[0:1]
	v_cmp_eq_u32_e64 s[0:1], s5, v22
	s_nop 1
	v_cndmask_b32_e64 v27, v24, v23, s[0:1]
	v_lshl_add_u64 v[22:23], v[10:11], 0, 2
	v_lshl_add_u64 v[24:25], v[10:11], 0, 1
	v_cmp_ne_u32_e64 s[0:1], 0, v27
	s_nop 1
	v_cndmask_b32_e64 v23, v25, v23, s[0:1]
	v_cndmask_b32_e64 v25, 0, -1, vcc
	v_cmp_le_u32_e32 vcc, s4, v19
	s_nop 1
	v_cndmask_b32_e64 v19, 0, -1, vcc
	v_cmp_eq_u32_e32 vcc, s5, v9
	s_nop 1
	v_cndmask_b32_e32 v9, v25, v19, vcc
	v_cmp_ne_u32_e32 vcc, 0, v9
	s_nop 1
	v_cndmask_b32_e32 v9, v11, v23, vcc
	v_cndmask_b32_e64 v11, v24, v22, s[0:1]
	v_cndmask_b32_e32 v10, v10, v11, vcc
	v_xor_b32_e32 v10, v10, v8
	v_xor_b32_e32 v9, v9, v8
	v_sub_co_u32_e32 v22, vcc, v10, v8
	s_nop 1
	v_subb_co_u32_e32 v23, vcc, v9, v8, vcc
.LBB28_13:                              ;   in Loop: Header=BB28_11 Depth=1
	s_or_saveexec_b64 s[0:1], s[2:3]
	v_cvt_f32_u32_e32 v8, s8
	v_rcp_iflag_f32_e32 v8, v8
	s_xor_b64 exec, exec, s[0:1]
	s_cbranch_execz .LBB28_15
; %bb.14:                               ;   in Loop: Header=BB28_11 Depth=1
	v_mul_f32_e32 v9, 0x4f7ffffe, v8
	v_cvt_u32_f32_e32 v9, v9
	s_sub_i32 s2, 0, s8
	v_mov_b32_e32 v23, v18
	v_mul_lo_u32 v10, s2, v9
	v_mul_hi_u32 v10, v9, v10
	v_add_u32_e32 v9, v9, v10
	v_mul_hi_u32 v9, v4, v9
	v_mul_lo_u32 v10, v9, s8
	v_sub_u32_e32 v10, v4, v10
	v_add_u32_e32 v11, 1, v9
	v_subrev_u32_e32 v19, s8, v10
	v_cmp_le_u32_e32 vcc, s8, v10
	s_nop 1
	v_cndmask_b32_e32 v10, v10, v19, vcc
	v_cndmask_b32_e32 v9, v9, v11, vcc
	v_add_u32_e32 v11, 1, v9
	v_cmp_le_u32_e32 vcc, s8, v10
	s_nop 1
	v_cndmask_b32_e32 v22, v9, v11, vcc
.LBB28_15:                              ;   in Loop: Header=BB28_11 Depth=1
	s_or_b64 exec, exec, s[0:1]
	v_or_b32_e32 v19, s9, v7
	v_cmp_ne_u64_e32 vcc, 0, v[18:19]
                                        ; implicit-def: $vgpr24_vgpr25
	s_and_saveexec_b64 s[0:1], vcc
	s_xor_b64 s[2:3], exec, s[0:1]
	s_cbranch_execz .LBB28_17
; %bb.16:                               ;   in Loop: Header=BB28_11 Depth=1
	s_add_u32 s0, s8, s52
	s_mov_b32 s53, s52
	s_addc_u32 s1, s9, s52
	s_xor_b64 s[4:5], s[0:1], s[52:53]
	v_cvt_f32_u32_e32 v8, s4
	v_cvt_f32_u32_e32 v9, s5
	s_sub_u32 s53, 0, s4
	s_subb_u32 s54, 0, s5
	v_mov_b32_e32 v25, v18
	v_fmac_f32_e32 v8, 0x4f800000, v9
	v_rcp_f32_e32 v8, v8
	s_nop 0
	v_mul_f32_e32 v8, 0x5f7ffffc, v8
	v_mul_f32_e32 v9, 0x2f800000, v8
	v_trunc_f32_e32 v9, v9
	v_fmac_f32_e32 v8, 0xcf800000, v9
	v_cvt_u32_f32_e32 v9, v9
	v_cvt_u32_f32_e32 v8, v8
	v_readfirstlane_b32 s55, v9
	v_readfirstlane_b32 s0, v8
	s_mul_i32 s1, s53, s55
	s_mul_hi_u32 s57, s53, s0
	s_mul_i32 s56, s54, s0
	s_add_i32 s1, s57, s1
	s_add_i32 s1, s1, s56
	s_mul_i32 s59, s53, s0
	s_mul_i32 s57, s0, s1
	s_mul_hi_u32 s60, s0, s59
	s_mul_hi_u32 s56, s0, s1
	s_add_u32 s57, s60, s57
	s_addc_u32 s56, 0, s56
	s_mul_hi_u32 s61, s55, s59
	s_mul_i32 s59, s55, s59
	s_add_u32 s57, s57, s59
	s_mul_hi_u32 s60, s55, s1
	s_addc_u32 s56, s56, s61
	s_addc_u32 s57, s60, 0
	s_mul_i32 s1, s55, s1
	s_add_u32 s1, s56, s1
	s_addc_u32 s56, 0, s57
	s_add_u32 s57, s0, s1
	s_cselect_b64 s[0:1], -1, 0
	s_cmp_lg_u64 s[0:1], 0
	s_addc_u32 s55, s55, s56
	s_mul_i32 s0, s53, s55
	s_mul_hi_u32 s1, s53, s57
	s_add_i32 s0, s1, s0
	s_mul_i32 s54, s54, s57
	s_add_i32 s0, s0, s54
	s_mul_i32 s53, s53, s57
	s_mul_hi_u32 s54, s55, s53
	s_mul_i32 s56, s55, s53
	s_mul_i32 s60, s57, s0
	s_mul_hi_u32 s53, s57, s53
	s_mul_hi_u32 s59, s57, s0
	s_add_u32 s53, s53, s60
	s_addc_u32 s59, 0, s59
	s_add_u32 s53, s53, s56
	s_mul_hi_u32 s1, s55, s0
	s_addc_u32 s53, s59, s54
	s_addc_u32 s1, s1, 0
	s_mul_i32 s0, s55, s0
	s_add_u32 s0, s53, s0
	s_addc_u32 s53, 0, s1
	s_add_u32 s54, s57, s0
	v_ashrrev_i32_e32 v8, 31, v7
	s_cselect_b64 s[0:1], -1, 0
	v_mov_b32_e32 v9, v8
	s_cmp_lg_u64 s[0:1], 0
	v_lshl_add_u64 v[10:11], v[6:7], 0, v[8:9]
	s_addc_u32 s53, s55, s53
	v_xor_b32_e32 v19, v10, v8
	v_xor_b32_e32 v9, v11, v8
	v_mad_u64_u32 v[10:11], s[0:1], v19, s53, 0
	v_mul_hi_u32 v24, v19, s54
	v_lshl_add_u64 v[10:11], v[24:25], 0, v[10:11]
	v_mad_u64_u32 v[26:27], s[0:1], v9, s54, 0
	v_add_co_u32_e32 v10, vcc, v10, v26
	v_mad_u64_u32 v[24:25], s[0:1], v9, s53, 0
	s_nop 0
	v_addc_co_u32_e32 v10, vcc, v11, v27, vcc
	v_mov_b32_e32 v11, v18
	s_nop 0
	v_addc_co_u32_e32 v25, vcc, 0, v25, vcc
	v_lshl_add_u64 v[10:11], v[10:11], 0, v[24:25]
	v_mul_lo_u32 v26, s5, v10
	v_mul_lo_u32 v27, s4, v11
	v_mad_u64_u32 v[24:25], s[0:1], s4, v10, 0
	v_add3_u32 v28, v25, v27, v26
	v_sub_u32_e32 v25, v9, v28
	v_mov_b32_e32 v26, s5
	v_sub_co_u32_e32 v19, vcc, v19, v24
	v_xor_b32_e32 v8, s52, v8
	s_nop 0
	v_subb_co_u32_e64 v24, s[0:1], v25, v26, vcc
	v_subrev_co_u32_e64 v25, s[0:1], s4, v19
	v_subb_co_u32_e32 v9, vcc, v9, v28, vcc
	s_nop 0
	v_subbrev_co_u32_e64 v24, s[0:1], 0, v24, s[0:1]
	v_cmp_le_u32_e64 s[0:1], s5, v24
	v_cmp_le_u32_e32 vcc, s5, v9
	s_nop 0
	v_cndmask_b32_e64 v26, 0, -1, s[0:1]
	v_cmp_le_u32_e64 s[0:1], s4, v25
	s_nop 1
	v_cndmask_b32_e64 v25, 0, -1, s[0:1]
	v_cmp_eq_u32_e64 s[0:1], s5, v24
	s_nop 1
	v_cndmask_b32_e64 v29, v26, v25, s[0:1]
	v_lshl_add_u64 v[24:25], v[10:11], 0, 2
	v_lshl_add_u64 v[26:27], v[10:11], 0, 1
	v_cmp_ne_u32_e64 s[0:1], 0, v29
	s_nop 1
	v_cndmask_b32_e64 v25, v27, v25, s[0:1]
	v_cndmask_b32_e64 v27, 0, -1, vcc
	v_cmp_le_u32_e32 vcc, s4, v19
	s_nop 1
	v_cndmask_b32_e64 v19, 0, -1, vcc
	v_cmp_eq_u32_e32 vcc, s5, v9
	s_nop 1
	v_cndmask_b32_e32 v9, v27, v19, vcc
	v_cmp_ne_u32_e32 vcc, 0, v9
	s_nop 1
	v_cndmask_b32_e32 v9, v11, v25, vcc
	v_cndmask_b32_e64 v11, v26, v24, s[0:1]
	v_cndmask_b32_e32 v10, v10, v11, vcc
	v_xor_b32_e32 v10, v10, v8
	v_xor_b32_e32 v9, v9, v8
	v_sub_co_u32_e32 v24, vcc, v10, v8
	s_nop 1
	v_subb_co_u32_e32 v25, vcc, v9, v8, vcc
                                        ; implicit-def: $vgpr8
.LBB28_17:                              ;   in Loop: Header=BB28_11 Depth=1
	s_andn2_saveexec_b64 s[0:1], s[2:3]
	s_cbranch_execz .LBB28_19
; %bb.18:                               ;   in Loop: Header=BB28_11 Depth=1
	v_mul_f32_e32 v8, 0x4f7ffffe, v8
	v_cvt_u32_f32_e32 v8, v8
	s_sub_i32 s2, 0, s8
	v_mov_b32_e32 v25, v18
	v_mul_lo_u32 v9, s2, v8
	v_mul_hi_u32 v9, v8, v9
	v_add_u32_e32 v8, v8, v9
	v_mul_hi_u32 v8, v6, v8
	v_mul_lo_u32 v9, v8, s8
	v_sub_u32_e32 v9, v6, v9
	v_add_u32_e32 v10, 1, v8
	v_subrev_u32_e32 v11, s8, v9
	v_cmp_le_u32_e32 vcc, s8, v9
	s_nop 1
	v_cndmask_b32_e32 v9, v9, v11, vcc
	v_cndmask_b32_e32 v8, v8, v10, vcc
	v_add_u32_e32 v10, 1, v8
	v_cmp_le_u32_e32 vcc, s8, v9
	s_nop 1
	v_cndmask_b32_e32 v24, v8, v10, vcc
.LBB28_19:                              ;   in Loop: Header=BB28_11 Depth=1
	s_or_b64 exec, exec, s[0:1]
	v_cndmask_b32_e64 v8, 0, 1, s[34:35]
	v_cmp_ne_u32_e64 s[0:1], 1, v8
	s_andn2_b64 vcc, exec, s[34:35]
                                        ; implicit-def: $vgpr8_vgpr9_vgpr10_vgpr11
	s_cbranch_vccnz .LBB28_25
; %bb.20:                               ;   in Loop: Header=BB28_11 Depth=1
	v_lshl_add_u64 v[8:9], s[28:29], 0, v[0:1]
	v_mul_lo_u32 v19, s40, v23
	v_mul_lo_u32 v26, s41, v22
	v_mad_u64_u32 v[10:11], s[2:3], s40, v22, v[8:9]
	v_add3_u32 v11, v26, v11, v19
	v_or_b32_e32 v19, s21, v11
	v_cmp_ne_u64_e32 vcc, 0, v[18:19]
                                        ; implicit-def: $vgpr8_vgpr9
	s_and_saveexec_b64 s[2:3], vcc
	s_xor_b64 s[54:55], exec, s[2:3]
	s_cbranch_execz .LBB28_22
; %bb.21:                               ;   in Loop: Header=BB28_11 Depth=1
	s_ashr_i32 s2, s21, 31
	s_add_u32 s4, s20, s2
	s_mov_b32 s3, s2
	s_addc_u32 s5, s21, s2
	s_xor_b64 s[56:57], s[4:5], s[2:3]
	v_cvt_f32_u32_e32 v8, s56
	v_cvt_f32_u32_e32 v9, s57
	s_sub_u32 s4, 0, s56
	s_subb_u32 s5, 0, s57
	v_ashrrev_i32_e32 v26, 31, v11
	v_fmac_f32_e32 v8, 0x4f800000, v9
	v_rcp_f32_e32 v8, v8
	v_mov_b32_e32 v27, v26
	v_mul_f32_e32 v8, 0x5f7ffffc, v8
	v_mul_f32_e32 v9, 0x2f800000, v8
	v_trunc_f32_e32 v9, v9
	v_fmac_f32_e32 v8, 0xcf800000, v9
	v_cvt_u32_f32_e32 v9, v9
	v_cvt_u32_f32_e32 v8, v8
	v_readfirstlane_b32 s53, v9
	v_readfirstlane_b32 s2, v8
	s_mul_i32 s3, s4, s53
	s_mul_hi_u32 s60, s4, s2
	s_mul_i32 s59, s5, s2
	s_add_i32 s3, s60, s3
	s_add_i32 s3, s3, s59
	s_mul_i32 s61, s4, s2
	s_mul_i32 s60, s2, s3
	s_mul_hi_u32 s62, s2, s61
	s_mul_hi_u32 s59, s2, s3
	s_add_u32 s60, s62, s60
	s_addc_u32 s59, 0, s59
	s_mul_hi_u32 s63, s53, s61
	s_mul_i32 s61, s53, s61
	s_add_u32 s60, s60, s61
	s_mul_hi_u32 s62, s53, s3
	s_addc_u32 s59, s59, s63
	s_addc_u32 s60, s62, 0
	s_mul_i32 s3, s53, s3
	s_add_u32 s3, s59, s3
	s_addc_u32 s59, 0, s60
	s_add_u32 s60, s2, s3
	s_cselect_b64 s[2:3], -1, 0
	s_cmp_lg_u64 s[2:3], 0
	s_addc_u32 s53, s53, s59
	s_mul_i32 s2, s4, s53
	s_mul_hi_u32 s3, s4, s60
	s_add_i32 s2, s3, s2
	s_mul_i32 s5, s5, s60
	s_add_i32 s2, s2, s5
	s_mul_i32 s4, s4, s60
	s_mul_hi_u32 s5, s53, s4
	s_mul_i32 s59, s53, s4
	s_mul_i32 s62, s60, s2
	s_mul_hi_u32 s4, s60, s4
	s_mul_hi_u32 s61, s60, s2
	s_add_u32 s4, s4, s62
	s_addc_u32 s61, 0, s61
	s_add_u32 s4, s4, s59
	s_mul_hi_u32 s3, s53, s2
	s_addc_u32 s4, s61, s5
	s_addc_u32 s3, s3, 0
	s_mul_i32 s2, s53, s2
	s_add_u32 s2, s4, s2
	s_addc_u32 s4, 0, s3
	s_add_u32 s5, s60, s2
	s_cselect_b64 s[2:3], -1, 0
	s_cmp_lg_u64 s[2:3], 0
	v_lshl_add_u64 v[8:9], v[10:11], 0, v[26:27]
	s_addc_u32 s4, s53, s4
	v_xor_b32_e32 v27, v8, v26
	v_xor_b32_e32 v19, v9, v26
	v_mad_u64_u32 v[8:9], s[2:3], v27, s4, 0
	v_mul_hi_u32 v10, v27, s5
	v_mov_b32_e32 v11, v18
	v_lshl_add_u64 v[8:9], v[10:11], 0, v[8:9]
	v_mad_u64_u32 v[28:29], s[2:3], v19, s5, 0
	v_add_co_u32_e32 v8, vcc, v8, v28
	v_mad_u64_u32 v[10:11], s[2:3], v19, s4, 0
	s_nop 0
	v_addc_co_u32_e32 v8, vcc, v9, v29, vcc
	v_mov_b32_e32 v9, v18
	s_nop 0
	v_addc_co_u32_e32 v11, vcc, 0, v11, vcc
	v_lshl_add_u64 v[8:9], v[8:9], 0, v[10:11]
	v_mul_lo_u32 v10, s57, v8
	v_mul_lo_u32 v11, s56, v9
	v_mad_u64_u32 v[8:9], s[2:3], s56, v8, 0
	v_add3_u32 v9, v9, v11, v10
	v_sub_u32_e32 v10, v19, v9
	v_mov_b32_e32 v11, s57
	v_sub_co_u32_e32 v8, vcc, v27, v8
	s_nop 1
	v_subb_co_u32_e64 v10, s[2:3], v10, v11, vcc
	v_subrev_co_u32_e64 v27, s[2:3], s56, v8
	v_subb_co_u32_e32 v9, vcc, v19, v9, vcc
	s_nop 0
	v_subbrev_co_u32_e64 v28, s[4:5], 0, v10, s[2:3]
	v_cmp_le_u32_e64 s[4:5], s57, v28
	v_subb_co_u32_e64 v10, s[2:3], v10, v11, s[2:3]
	s_nop 0
	v_cndmask_b32_e64 v29, 0, -1, s[4:5]
	v_cmp_le_u32_e64 s[4:5], s56, v27
	v_subrev_co_u32_e64 v11, s[2:3], s56, v27
	s_nop 0
	v_cndmask_b32_e64 v30, 0, -1, s[4:5]
	v_cmp_eq_u32_e64 s[4:5], s57, v28
	v_subbrev_co_u32_e64 v10, s[2:3], 0, v10, s[2:3]
	s_nop 0
	v_cndmask_b32_e64 v29, v29, v30, s[4:5]
	v_cmp_le_u32_e32 vcc, s57, v9
	v_cmp_ne_u32_e64 s[2:3], 0, v29
	s_nop 0
	v_cndmask_b32_e64 v19, 0, -1, vcc
	v_cmp_le_u32_e32 vcc, s56, v8
	v_cndmask_b32_e64 v10, v28, v10, s[2:3]
	s_nop 0
	v_cndmask_b32_e64 v28, 0, -1, vcc
	v_cmp_eq_u32_e32 vcc, s57, v9
	s_nop 1
	v_cndmask_b32_e32 v19, v19, v28, vcc
	v_cmp_ne_u32_e32 vcc, 0, v19
	s_nop 1
	v_cndmask_b32_e32 v9, v9, v10, vcc
	v_cndmask_b32_e64 v10, v27, v11, s[2:3]
	v_cndmask_b32_e32 v8, v8, v10, vcc
	v_xor_b32_e32 v8, v8, v26
	v_xor_b32_e32 v9, v9, v26
	v_sub_co_u32_e32 v8, vcc, v8, v26
                                        ; implicit-def: $vgpr10_vgpr11
	s_nop 1
	v_subb_co_u32_e32 v9, vcc, v9, v26, vcc
.LBB28_22:                              ;   in Loop: Header=BB28_11 Depth=1
	s_andn2_saveexec_b64 s[2:3], s[54:55]
	s_cbranch_execz .LBB28_24
; %bb.23:                               ;   in Loop: Header=BB28_11 Depth=1
	v_cvt_f32_u32_e32 v8, s20
	s_sub_i32 s4, 0, s20
	v_rcp_iflag_f32_e32 v8, v8
	s_nop 0
	v_mul_f32_e32 v8, 0x4f7ffffe, v8
	v_cvt_u32_f32_e32 v8, v8
	v_mul_lo_u32 v9, s4, v8
	v_mul_hi_u32 v9, v8, v9
	v_add_u32_e32 v8, v8, v9
	v_mul_hi_u32 v8, v10, v8
	v_mul_lo_u32 v8, v8, s20
	v_sub_u32_e32 v8, v10, v8
	v_subrev_u32_e32 v9, s20, v8
	v_cmp_le_u32_e32 vcc, s20, v8
	s_nop 1
	v_cndmask_b32_e32 v8, v8, v9, vcc
	v_subrev_u32_e32 v9, s20, v8
	v_cmp_le_u32_e32 vcc, s20, v8
	s_nop 1
	v_cndmask_b32_e32 v8, v8, v9, vcc
	v_mov_b32_e32 v9, v18
.LBB28_24:                              ;   in Loop: Header=BB28_11 Depth=1
	s_or_b64 exec, exec, s[2:3]
.LBB28_25:                              ;   in Loop: Header=BB28_11 Depth=1
	s_and_b64 vcc, exec, s[0:1]
	s_cbranch_vccnz .LBB28_10
; %bb.26:                               ;   in Loop: Header=BB28_11 Depth=1
	v_lshl_add_u64 v[10:11], s[30:31], 0, v[0:1]
	v_mul_lo_u32 v19, s40, v25
	v_mul_lo_u32 v28, s41, v24
	v_mad_u64_u32 v[26:27], s[0:1], s40, v24, v[10:11]
	v_add3_u32 v27, v28, v27, v19
	v_or_b32_e32 v19, s21, v27
	v_cmp_ne_u64_e32 vcc, 0, v[18:19]
	s_and_saveexec_b64 s[0:1], vcc
	s_xor_b64 s[4:5], exec, s[0:1]
	s_cbranch_execz .LBB28_28
; %bb.27:                               ;   in Loop: Header=BB28_11 Depth=1
	s_ashr_i32 s0, s21, 31
	s_add_u32 s2, s20, s0
	s_mov_b32 s1, s0
	s_addc_u32 s3, s21, s0
	s_xor_b64 s[54:55], s[2:3], s[0:1]
	v_cvt_f32_u32_e32 v10, s54
	v_cvt_f32_u32_e32 v11, s55
	s_sub_u32 s2, 0, s54
	s_subb_u32 s3, 0, s55
	v_ashrrev_i32_e32 v28, 31, v27
	v_fmac_f32_e32 v10, 0x4f800000, v11
	v_rcp_f32_e32 v10, v10
	v_mov_b32_e32 v29, v28
	v_mul_f32_e32 v10, 0x5f7ffffc, v10
	v_mul_f32_e32 v11, 0x2f800000, v10
	v_trunc_f32_e32 v11, v11
	v_fmac_f32_e32 v10, 0xcf800000, v11
	v_cvt_u32_f32_e32 v11, v11
	v_cvt_u32_f32_e32 v10, v10
	v_readfirstlane_b32 s53, v11
	v_readfirstlane_b32 s0, v10
	s_mul_i32 s1, s2, s53
	s_mul_hi_u32 s57, s2, s0
	s_mul_i32 s56, s3, s0
	s_add_i32 s1, s57, s1
	s_add_i32 s1, s1, s56
	s_mul_i32 s59, s2, s0
	s_mul_i32 s57, s0, s1
	s_mul_hi_u32 s60, s0, s59
	s_mul_hi_u32 s56, s0, s1
	s_add_u32 s57, s60, s57
	s_addc_u32 s56, 0, s56
	s_mul_hi_u32 s61, s53, s59
	s_mul_i32 s59, s53, s59
	s_add_u32 s57, s57, s59
	s_mul_hi_u32 s60, s53, s1
	s_addc_u32 s56, s56, s61
	s_addc_u32 s57, s60, 0
	s_mul_i32 s1, s53, s1
	s_add_u32 s1, s56, s1
	s_addc_u32 s56, 0, s57
	s_add_u32 s57, s0, s1
	s_cselect_b64 s[0:1], -1, 0
	s_cmp_lg_u64 s[0:1], 0
	s_addc_u32 s53, s53, s56
	s_mul_i32 s0, s2, s53
	s_mul_hi_u32 s1, s2, s57
	s_add_i32 s0, s1, s0
	s_mul_i32 s3, s3, s57
	s_add_i32 s0, s0, s3
	s_mul_i32 s2, s2, s57
	s_mul_hi_u32 s3, s53, s2
	s_mul_i32 s56, s53, s2
	s_mul_i32 s60, s57, s0
	s_mul_hi_u32 s2, s57, s2
	s_mul_hi_u32 s59, s57, s0
	s_add_u32 s2, s2, s60
	s_addc_u32 s59, 0, s59
	s_add_u32 s2, s2, s56
	s_mul_hi_u32 s1, s53, s0
	s_addc_u32 s2, s59, s3
	s_addc_u32 s1, s1, 0
	s_mul_i32 s0, s53, s0
	s_add_u32 s0, s2, s0
	s_addc_u32 s2, 0, s1
	s_add_u32 s3, s57, s0
	s_cselect_b64 s[0:1], -1, 0
	s_cmp_lg_u64 s[0:1], 0
	v_lshl_add_u64 v[10:11], v[26:27], 0, v[28:29]
	s_addc_u32 s2, s53, s2
	v_xor_b32_e32 v29, v10, v28
	v_xor_b32_e32 v19, v11, v28
	v_mad_u64_u32 v[10:11], s[0:1], v29, s2, 0
	v_mul_hi_u32 v26, v29, s3
	v_mov_b32_e32 v27, v18
	v_lshl_add_u64 v[10:11], v[26:27], 0, v[10:11]
	v_mad_u64_u32 v[30:31], s[0:1], v19, s3, 0
	v_add_co_u32_e32 v10, vcc, v10, v30
	v_mad_u64_u32 v[26:27], s[0:1], v19, s2, 0
	s_nop 0
	v_addc_co_u32_e32 v10, vcc, v11, v31, vcc
	v_mov_b32_e32 v11, v18
	s_nop 0
	v_addc_co_u32_e32 v27, vcc, 0, v27, vcc
	v_lshl_add_u64 v[10:11], v[10:11], 0, v[26:27]
	v_mul_lo_u32 v26, s55, v10
	v_mul_lo_u32 v27, s54, v11
	v_mad_u64_u32 v[10:11], s[0:1], s54, v10, 0
	v_add3_u32 v11, v11, v27, v26
	v_sub_u32_e32 v26, v19, v11
	v_mov_b32_e32 v27, s55
	v_sub_co_u32_e32 v10, vcc, v29, v10
	s_nop 1
	v_subb_co_u32_e64 v26, s[0:1], v26, v27, vcc
	v_subrev_co_u32_e64 v29, s[0:1], s54, v10
	v_subb_co_u32_e32 v11, vcc, v19, v11, vcc
	s_nop 0
	v_subbrev_co_u32_e64 v30, s[2:3], 0, v26, s[0:1]
	v_cmp_le_u32_e64 s[2:3], s55, v30
	v_subb_co_u32_e64 v26, s[0:1], v26, v27, s[0:1]
	s_nop 0
	v_cndmask_b32_e64 v31, 0, -1, s[2:3]
	v_cmp_le_u32_e64 s[2:3], s54, v29
	v_subrev_co_u32_e64 v27, s[0:1], s54, v29
	s_nop 0
	v_cndmask_b32_e64 v32, 0, -1, s[2:3]
	v_cmp_eq_u32_e64 s[2:3], s55, v30
	v_subbrev_co_u32_e64 v26, s[0:1], 0, v26, s[0:1]
	s_nop 0
	v_cndmask_b32_e64 v31, v31, v32, s[2:3]
	v_cmp_le_u32_e32 vcc, s55, v11
	v_cmp_ne_u32_e64 s[0:1], 0, v31
	s_nop 0
	v_cndmask_b32_e64 v19, 0, -1, vcc
	v_cmp_le_u32_e32 vcc, s54, v10
	v_cndmask_b32_e64 v26, v30, v26, s[0:1]
	s_nop 0
	v_cndmask_b32_e64 v30, 0, -1, vcc
	v_cmp_eq_u32_e32 vcc, s55, v11
	s_nop 1
	v_cndmask_b32_e32 v19, v19, v30, vcc
	v_cmp_ne_u32_e32 vcc, 0, v19
	v_cndmask_b32_e64 v19, v29, v27, s[0:1]
	s_nop 0
	v_cndmask_b32_e32 v10, v10, v19, vcc
	v_cndmask_b32_e32 v11, v11, v26, vcc
	v_xor_b32_e32 v10, v10, v28
	v_xor_b32_e32 v11, v11, v28
	v_sub_co_u32_e32 v10, vcc, v10, v28
                                        ; implicit-def: $vgpr26_vgpr27
	s_nop 1
	v_subb_co_u32_e32 v11, vcc, v11, v28, vcc
.LBB28_28:                              ;   in Loop: Header=BB28_11 Depth=1
	s_andn2_saveexec_b64 s[0:1], s[4:5]
	s_cbranch_execz .LBB28_9
; %bb.29:                               ;   in Loop: Header=BB28_11 Depth=1
	v_cvt_f32_u32_e32 v10, s20
	s_sub_i32 s2, 0, s20
	v_rcp_iflag_f32_e32 v10, v10
	s_nop 0
	v_mul_f32_e32 v10, 0x4f7ffffe, v10
	v_cvt_u32_f32_e32 v10, v10
	v_mul_lo_u32 v11, s2, v10
	v_mul_hi_u32 v11, v10, v11
	v_add_u32_e32 v10, v10, v11
	v_mul_hi_u32 v10, v26, v10
	v_mul_lo_u32 v10, v10, s20
	v_sub_u32_e32 v10, v26, v10
	v_subrev_u32_e32 v11, s20, v10
	v_cmp_le_u32_e32 vcc, s20, v10
	s_nop 1
	v_cndmask_b32_e32 v10, v10, v11, vcc
	v_subrev_u32_e32 v11, s20, v10
	v_cmp_le_u32_e32 vcc, s20, v10
	s_nop 1
	v_cndmask_b32_e32 v10, v10, v11, vcc
	v_mov_b32_e32 v11, v18
	s_branch .LBB28_9
.LBB28_30:
	s_or_b64 exec, exec, s[46:47]
	v_mad_u64_u32 v[2:3], s[0:1], v14, s10, v[2:3]
	v_mul_lo_u32 v0, v14, s11
	v_mul_lo_u32 v1, v15, s10
	v_cmp_ne_u64_e32 vcc, v[12:13], v[14:15]
	v_add3_u32 v3, v1, v3, v0
	v_mov_b64_e32 v[6:7], s[48:49]
	v_mov_b64_e32 v[4:5], s[40:41]
	s_and_b64 s[0:1], vcc, exec
	s_andn2_saveexec_b64 s[2:3], s[24:25]
	s_cbranch_execz .LBB28_7
.LBB28_31:
	s_sub_u32 s4, 0, s8
	s_subb_u32 s5, 0, s9
	s_lshl_b64 s[24:25], s[10:11], 2
	v_mov_b64_e32 v[4:5], s[4:5]
	v_mov_b64_e32 v[6:7], s[24:25]
	s_or_b64 s[0:1], s[0:1], exec
	s_or_b64 exec, exec, s[2:3]
	s_and_b64 exec, exec, s[0:1]
	s_cbranch_execz .LBB28_44
.LBB28_32:
	v_cvt_f32_u32_e32 v8, s8
	s_sub_u32 s18, 0, s18
	v_cndmask_b32_e64 v10, 0, 1, s[22:23]
	s_subb_u32 s19, 0, s19
	v_rcp_iflag_f32_e32 v9, v8
	s_sub_i32 s2, 0, s8
	v_cmp_ne_u32_e64 s[0:1], 1, v10
	s_mov_b64 s[24:25], 0
	v_mul_f32_e32 v9, 0x4f7ffffe, v9
	v_cvt_u32_f32_e32 v9, v9
	v_lshl_add_u64 v[0:1], v[2:3], 2, s[14:15]
	v_mov_b32_e32 v8, 0
	s_ashr_i32 s14, s9, 31
	v_mul_lo_u32 v10, s2, v9
	v_mul_hi_u32 v10, v9, v10
	v_add_u32_e32 v16, v9, v10
	s_ashr_i32 s22, s21, 31
	s_branch .LBB28_35
.LBB28_33:                              ;   in Loop: Header=BB28_35 Depth=1
	s_or_b64 exec, exec, s[2:3]
	v_ashrrev_i32_e32 v9, 31, v15
	v_and_b32_e32 v13, s21, v9
	v_and_b32_e32 v12, s20, v9
	v_lshl_add_u64 v[12:13], v[12:13], 0, v[14:15]
	v_mov_b32_e32 v9, s21
	v_sub_co_u32_e32 v14, vcc, s20, v12
	s_nop 1
	v_subb_co_u32_e32 v9, vcc, v9, v13, vcc
	v_cmp_gt_i64_e32 vcc, s[16:17], v[12:13]
	s_nop 1
	v_cndmask_b32_e32 v13, v9, v13, vcc
	v_cndmask_b32_e32 v12, v14, v12, vcc
.LBB28_34:                              ;   in Loop: Header=BB28_35 Depth=1
	v_mul_lo_u32 v9, v11, s16
	v_mul_lo_u32 v14, v10, s17
	v_mad_u64_u32 v[10:11], s[2:3], v10, s16, 0
	v_add3_u32 v11, v11, v14, v9
	v_lshl_add_u64 v[10:11], v[10:11], 2, s[12:13]
	v_lshl_add_u64 v[10:11], v[12:13], 2, v[10:11]
	global_load_dword v9, v[10:11], off
	v_lshl_add_u64 v[2:3], v[2:3], 0, s[10:11]
	v_cmp_le_i64_e32 vcc, s[6:7], v[2:3]
	s_or_b64 s[24:25], vcc, s[24:25]
	s_waitcnt vmcnt(0)
	global_store_dword v[0:1], v9, off
	v_lshl_add_u64 v[0:1], v[0:1], 0, v[6:7]
	s_andn2_b64 exec, exec, s[24:25]
	s_cbranch_execz .LBB28_44
.LBB28_35:                              ; =>This Inner Loop Header: Depth=1
	v_or_b32_e32 v9, s9, v3
	v_cmp_ne_u64_e32 vcc, 0, v[8:9]
                                        ; implicit-def: $vgpr10_vgpr11
	s_and_saveexec_b64 s[2:3], vcc
	s_xor_b64 s[4:5], exec, s[2:3]
	s_cbranch_execnz .LBB28_38
; %bb.36:                               ;   in Loop: Header=BB28_35 Depth=1
	s_andn2_saveexec_b64 s[2:3], s[4:5]
	s_cbranch_execnz .LBB28_39
.LBB28_37:                              ;   in Loop: Header=BB28_35 Depth=1
	s_or_b64 exec, exec, s[2:3]
	s_and_b64 vcc, exec, s[0:1]
	v_mov_b64_e32 v[12:13], 0
	s_cbranch_vccnz .LBB28_34
	s_branch .LBB28_40
.LBB28_38:                              ;   in Loop: Header=BB28_35 Depth=1
	s_add_u32 s2, s8, s14
	s_mov_b32 s15, s14
	s_addc_u32 s3, s9, s14
	s_xor_b64 s[26:27], s[2:3], s[14:15]
	v_cvt_f32_u32_e32 v9, s26
	v_cvt_f32_u32_e32 v10, s27
	s_sub_u32 s15, 0, s26
	s_subb_u32 s23, 0, s27
	v_mov_b32_e32 v15, v8
	v_fmac_f32_e32 v9, 0x4f800000, v10
	v_rcp_f32_e32 v9, v9
	s_nop 0
	v_mul_f32_e32 v9, 0x5f7ffffc, v9
	v_mul_f32_e32 v10, 0x2f800000, v9
	v_trunc_f32_e32 v10, v10
	v_fmac_f32_e32 v9, 0xcf800000, v10
	v_cvt_u32_f32_e32 v10, v10
	v_cvt_u32_f32_e32 v9, v9
	v_readfirstlane_b32 s28, v10
	v_readfirstlane_b32 s2, v9
	s_mul_i32 s3, s15, s28
	s_mul_hi_u32 s30, s15, s2
	s_mul_i32 s29, s23, s2
	s_add_i32 s3, s30, s3
	s_add_i32 s3, s3, s29
	s_mul_i32 s31, s15, s2
	s_mul_i32 s30, s2, s3
	s_mul_hi_u32 s33, s2, s31
	s_mul_hi_u32 s29, s2, s3
	s_add_u32 s30, s33, s30
	s_addc_u32 s29, 0, s29
	s_mul_hi_u32 s34, s28, s31
	s_mul_i32 s31, s28, s31
	s_add_u32 s30, s30, s31
	s_mul_hi_u32 s33, s28, s3
	s_addc_u32 s29, s29, s34
	s_addc_u32 s30, s33, 0
	s_mul_i32 s3, s28, s3
	s_add_u32 s3, s29, s3
	s_addc_u32 s29, 0, s30
	s_add_u32 s30, s2, s3
	s_cselect_b64 s[2:3], -1, 0
	s_cmp_lg_u64 s[2:3], 0
	s_addc_u32 s28, s28, s29
	s_mul_i32 s2, s15, s28
	s_mul_hi_u32 s3, s15, s30
	s_add_i32 s2, s3, s2
	s_mul_i32 s23, s23, s30
	s_add_i32 s2, s2, s23
	s_mul_i32 s15, s15, s30
	s_mul_hi_u32 s23, s28, s15
	s_mul_i32 s29, s28, s15
	s_mul_i32 s33, s30, s2
	s_mul_hi_u32 s15, s30, s15
	s_mul_hi_u32 s31, s30, s2
	s_add_u32 s15, s15, s33
	s_addc_u32 s31, 0, s31
	s_add_u32 s15, s15, s29
	s_mul_hi_u32 s3, s28, s2
	s_addc_u32 s15, s31, s23
	s_addc_u32 s3, s3, 0
	s_mul_i32 s2, s28, s2
	s_add_u32 s2, s15, s2
	s_addc_u32 s15, 0, s3
	s_add_u32 s23, s30, s2
	v_ashrrev_i32_e32 v10, 31, v3
	s_cselect_b64 s[2:3], -1, 0
	v_mov_b32_e32 v11, v10
	s_cmp_lg_u64 s[2:3], 0
	v_lshl_add_u64 v[12:13], v[2:3], 0, v[10:11]
	s_addc_u32 s15, s28, s15
	v_xor_b32_e32 v11, v12, v10
	v_xor_b32_e32 v9, v13, v10
	v_mad_u64_u32 v[12:13], s[2:3], v11, s15, 0
	v_mul_hi_u32 v14, v11, s23
	v_lshl_add_u64 v[12:13], v[14:15], 0, v[12:13]
	v_mad_u64_u32 v[18:19], s[2:3], v9, s23, 0
	v_add_co_u32_e32 v12, vcc, v12, v18
	v_mad_u64_u32 v[14:15], s[2:3], v9, s15, 0
	s_nop 0
	v_addc_co_u32_e32 v12, vcc, v13, v19, vcc
	v_mov_b32_e32 v13, v8
	s_nop 0
	v_addc_co_u32_e32 v15, vcc, 0, v15, vcc
	v_lshl_add_u64 v[12:13], v[12:13], 0, v[14:15]
	v_mul_lo_u32 v17, s27, v12
	v_mul_lo_u32 v18, s26, v13
	v_mad_u64_u32 v[14:15], s[2:3], s26, v12, 0
	v_add3_u32 v17, v15, v18, v17
	v_sub_u32_e32 v15, v9, v17
	v_mov_b32_e32 v18, s27
	v_sub_co_u32_e32 v11, vcc, v11, v14
	s_nop 1
	v_subb_co_u32_e64 v14, s[2:3], v15, v18, vcc
	v_subrev_co_u32_e64 v15, s[2:3], s26, v11
	v_subb_co_u32_e32 v9, vcc, v9, v17, vcc
	s_nop 0
	v_subbrev_co_u32_e64 v14, s[2:3], 0, v14, s[2:3]
	v_cmp_le_u32_e64 s[2:3], s27, v14
	v_cmp_le_u32_e32 vcc, s27, v9
	s_nop 0
	v_cndmask_b32_e64 v18, 0, -1, s[2:3]
	v_cmp_le_u32_e64 s[2:3], s26, v15
	v_cndmask_b32_e64 v17, 0, -1, vcc
	v_cmp_le_u32_e32 vcc, s26, v11
	v_cndmask_b32_e64 v15, 0, -1, s[2:3]
	v_cmp_eq_u32_e64 s[2:3], s27, v14
	v_cndmask_b32_e64 v11, 0, -1, vcc
	v_cmp_eq_u32_e32 vcc, s27, v9
	v_cndmask_b32_e64 v20, v18, v15, s[2:3]
	v_lshl_add_u64 v[14:15], v[12:13], 0, 2
	v_lshl_add_u64 v[18:19], v[12:13], 0, 1
	v_cmp_ne_u32_e64 s[2:3], 0, v20
	v_cndmask_b32_e32 v9, v17, v11, vcc
	v_cmp_ne_u32_e32 vcc, 0, v9
	v_cndmask_b32_e64 v11, v18, v14, s[2:3]
	v_cndmask_b32_e64 v15, v19, v15, s[2:3]
	v_cndmask_b32_e32 v11, v12, v11, vcc
	v_xor_b32_e32 v12, s14, v10
	v_cndmask_b32_e32 v9, v13, v15, vcc
	v_xor_b32_e32 v10, v11, v12
	v_xor_b32_e32 v9, v9, v12
	v_sub_co_u32_e32 v10, vcc, v10, v12
	s_nop 1
	v_subb_co_u32_e32 v11, vcc, v9, v12, vcc
	s_andn2_saveexec_b64 s[2:3], s[4:5]
	s_cbranch_execz .LBB28_37
.LBB28_39:                              ;   in Loop: Header=BB28_35 Depth=1
	v_mul_hi_u32 v9, v2, v16
	v_mul_lo_u32 v10, v9, s8
	v_sub_u32_e32 v10, v2, v10
	v_subrev_u32_e32 v11, s8, v10
	v_cmp_le_u32_e32 vcc, s8, v10
	s_nop 1
	v_cndmask_b32_e32 v10, v10, v11, vcc
	v_add_u32_e32 v11, 1, v9
	v_cndmask_b32_e32 v9, v9, v11, vcc
	v_add_u32_e32 v11, 1, v9
	v_cmp_le_u32_e32 vcc, s8, v10
	s_nop 1
	v_cndmask_b32_e32 v10, v9, v11, vcc
	v_mov_b32_e32 v11, v8
	s_or_b64 exec, exec, s[2:3]
	s_and_b64 vcc, exec, s[0:1]
	v_mov_b64_e32 v[12:13], 0
	s_cbranch_vccnz .LBB28_34
.LBB28_40:                              ;   in Loop: Header=BB28_35 Depth=1
	v_lshl_add_u64 v[12:13], s[18:19], 0, v[2:3]
	v_mul_lo_u32 v9, v4, v11
	v_mul_lo_u32 v14, v5, v10
	v_mad_u64_u32 v[12:13], s[2:3], v4, v10, v[12:13]
	v_add3_u32 v13, v14, v13, v9
	v_or_b32_e32 v9, s21, v13
	v_cmp_ne_u64_e32 vcc, 0, v[8:9]
                                        ; implicit-def: $vgpr14_vgpr15
	s_and_saveexec_b64 s[2:3], vcc
	s_xor_b64 s[26:27], exec, s[2:3]
	s_cbranch_execz .LBB28_42
; %bb.41:                               ;   in Loop: Header=BB28_35 Depth=1
	s_add_u32 s2, s20, s22
	s_mov_b32 s23, s22
	s_addc_u32 s3, s21, s22
	s_xor_b64 s[28:29], s[2:3], s[22:23]
	v_cvt_f32_u32_e32 v9, s28
	v_cvt_f32_u32_e32 v14, s29
	s_sub_u32 s4, 0, s28
	s_subb_u32 s5, 0, s29
	v_ashrrev_i32_e32 v18, 31, v13
	v_fmac_f32_e32 v9, 0x4f800000, v14
	v_rcp_f32_e32 v9, v9
	v_mov_b32_e32 v19, v18
	v_lshl_add_u64 v[12:13], v[12:13], 0, v[18:19]
	v_xor_b32_e32 v17, v12, v18
	v_mul_f32_e32 v9, 0x5f7ffffc, v9
	v_mul_f32_e32 v14, 0x2f800000, v9
	v_trunc_f32_e32 v14, v14
	v_fmac_f32_e32 v9, 0xcf800000, v14
	v_cvt_u32_f32_e32 v14, v14
	v_cvt_u32_f32_e32 v9, v9
	v_mov_b32_e32 v15, v8
	v_readfirstlane_b32 s15, v14
	v_readfirstlane_b32 s2, v9
	s_mul_i32 s3, s4, s15
	s_mul_hi_u32 s30, s4, s2
	s_mul_i32 s23, s5, s2
	s_add_i32 s3, s30, s3
	s_add_i32 s3, s3, s23
	s_mul_i32 s31, s4, s2
	s_mul_i32 s30, s2, s3
	s_mul_hi_u32 s33, s2, s31
	s_mul_hi_u32 s23, s2, s3
	s_add_u32 s30, s33, s30
	s_addc_u32 s23, 0, s23
	s_mul_hi_u32 s34, s15, s31
	s_mul_i32 s31, s15, s31
	s_add_u32 s30, s30, s31
	s_mul_hi_u32 s33, s15, s3
	s_addc_u32 s23, s23, s34
	s_addc_u32 s30, s33, 0
	s_mul_i32 s3, s15, s3
	s_add_u32 s3, s23, s3
	s_addc_u32 s23, 0, s30
	s_add_u32 s30, s2, s3
	s_cselect_b64 s[2:3], -1, 0
	s_cmp_lg_u64 s[2:3], 0
	s_addc_u32 s15, s15, s23
	s_mul_i32 s2, s4, s15
	s_mul_hi_u32 s3, s4, s30
	s_add_i32 s2, s3, s2
	s_mul_i32 s5, s5, s30
	s_add_i32 s2, s2, s5
	s_mul_i32 s4, s4, s30
	s_mul_hi_u32 s5, s15, s4
	s_mul_i32 s23, s15, s4
	s_mul_i32 s33, s30, s2
	s_mul_hi_u32 s4, s30, s4
	s_mul_hi_u32 s31, s30, s2
	s_add_u32 s4, s4, s33
	s_addc_u32 s31, 0, s31
	s_add_u32 s4, s4, s23
	s_mul_hi_u32 s3, s15, s2
	s_addc_u32 s4, s31, s5
	s_addc_u32 s3, s3, 0
	s_mul_i32 s2, s15, s2
	s_add_u32 s2, s4, s2
	s_addc_u32 s4, 0, s3
	s_add_u32 s5, s30, s2
	s_cselect_b64 s[2:3], -1, 0
	s_cmp_lg_u64 s[2:3], 0
	s_addc_u32 s4, s15, s4
	v_xor_b32_e32 v9, v13, v18
	v_mad_u64_u32 v[12:13], s[2:3], v17, s4, 0
	v_mul_hi_u32 v14, v17, s5
	v_lshl_add_u64 v[12:13], v[14:15], 0, v[12:13]
	v_mad_u64_u32 v[20:21], s[2:3], v9, s5, 0
	v_add_co_u32_e32 v12, vcc, v12, v20
	v_mad_u64_u32 v[14:15], s[2:3], v9, s4, 0
	s_nop 0
	v_addc_co_u32_e32 v12, vcc, v13, v21, vcc
	v_mov_b32_e32 v13, v8
	s_nop 0
	v_addc_co_u32_e32 v15, vcc, 0, v15, vcc
	v_lshl_add_u64 v[12:13], v[12:13], 0, v[14:15]
	v_mul_lo_u32 v14, s29, v12
	v_mul_lo_u32 v15, s28, v13
	v_mad_u64_u32 v[12:13], s[2:3], s28, v12, 0
	v_add3_u32 v13, v13, v15, v14
	v_sub_u32_e32 v14, v9, v13
	v_mov_b32_e32 v15, s29
	v_sub_co_u32_e32 v12, vcc, v17, v12
	s_nop 1
	v_subb_co_u32_e64 v14, s[2:3], v14, v15, vcc
	v_subrev_co_u32_e64 v17, s[2:3], s28, v12
	v_subb_co_u32_e32 v9, vcc, v9, v13, vcc
	s_nop 0
	v_subbrev_co_u32_e64 v19, s[4:5], 0, v14, s[2:3]
	v_cmp_le_u32_e64 s[4:5], s29, v19
	v_subb_co_u32_e64 v14, s[2:3], v14, v15, s[2:3]
	s_nop 0
	v_cndmask_b32_e64 v20, 0, -1, s[4:5]
	v_cmp_le_u32_e64 s[4:5], s28, v17
	v_subrev_co_u32_e64 v15, s[2:3], s28, v17
	s_nop 0
	v_cndmask_b32_e64 v21, 0, -1, s[4:5]
	v_cmp_eq_u32_e64 s[4:5], s29, v19
	v_subbrev_co_u32_e64 v14, s[2:3], 0, v14, s[2:3]
	s_nop 0
	v_cndmask_b32_e64 v20, v20, v21, s[4:5]
	v_cmp_le_u32_e32 vcc, s29, v9
	v_cmp_ne_u32_e64 s[2:3], 0, v20
	s_nop 0
	v_cndmask_b32_e64 v13, 0, -1, vcc
	v_cmp_le_u32_e32 vcc, s28, v12
	v_cndmask_b32_e64 v14, v19, v14, s[2:3]
	s_nop 0
	v_cndmask_b32_e64 v19, 0, -1, vcc
	v_cmp_eq_u32_e32 vcc, s29, v9
	s_nop 1
	v_cndmask_b32_e32 v13, v13, v19, vcc
	v_cmp_ne_u32_e32 vcc, 0, v13
	v_cndmask_b32_e64 v13, v17, v15, s[2:3]
	s_nop 0
	v_cndmask_b32_e32 v12, v12, v13, vcc
	v_cndmask_b32_e32 v9, v9, v14, vcc
	v_xor_b32_e32 v12, v12, v18
	v_xor_b32_e32 v9, v9, v18
	v_sub_co_u32_e32 v14, vcc, v12, v18
                                        ; implicit-def: $vgpr12_vgpr13
	s_nop 1
	v_subb_co_u32_e32 v15, vcc, v9, v18, vcc
.LBB28_42:                              ;   in Loop: Header=BB28_35 Depth=1
	s_andn2_saveexec_b64 s[2:3], s[26:27]
	s_cbranch_execz .LBB28_33
; %bb.43:                               ;   in Loop: Header=BB28_35 Depth=1
	v_cvt_f32_u32_e32 v9, s20
	s_sub_i32 s4, 0, s20
	v_mov_b32_e32 v15, v8
	v_rcp_iflag_f32_e32 v9, v9
	s_nop 0
	v_mul_f32_e32 v9, 0x4f7ffffe, v9
	v_cvt_u32_f32_e32 v9, v9
	v_mul_lo_u32 v13, s4, v9
	v_mul_hi_u32 v13, v9, v13
	v_add_u32_e32 v9, v9, v13
	v_mul_hi_u32 v9, v12, v9
	v_mul_lo_u32 v9, v9, s20
	v_sub_u32_e32 v9, v12, v9
	v_subrev_u32_e32 v12, s20, v9
	v_cmp_le_u32_e32 vcc, s20, v9
	s_nop 1
	v_cndmask_b32_e32 v9, v9, v12, vcc
	v_subrev_u32_e32 v12, s20, v9
	v_cmp_le_u32_e32 vcc, s20, v9
	s_nop 1
	v_cndmask_b32_e32 v14, v9, v12, vcc
	s_branch .LBB28_33
.LBB28_44:
	s_endpgm
	.section	.rodata,"a",@progbits
	.p2align	6, 0x0
	.amdhsa_kernel _ZN2at6native12_GLOBAL__N_121reflection_pad1d_flatIiEEvPKT_PS3_lllll
		.amdhsa_group_segment_fixed_size 0
		.amdhsa_private_segment_fixed_size 0
		.amdhsa_kernarg_size 312
		.amdhsa_user_sgpr_count 2
		.amdhsa_user_sgpr_dispatch_ptr 0
		.amdhsa_user_sgpr_queue_ptr 0
		.amdhsa_user_sgpr_kernarg_segment_ptr 1
		.amdhsa_user_sgpr_dispatch_id 0
		.amdhsa_user_sgpr_kernarg_preload_length 0
		.amdhsa_user_sgpr_kernarg_preload_offset 0
		.amdhsa_user_sgpr_private_segment_size 0
		.amdhsa_uses_dynamic_stack 0
		.amdhsa_enable_private_segment 0
		.amdhsa_system_sgpr_workgroup_id_x 1
		.amdhsa_system_sgpr_workgroup_id_y 0
		.amdhsa_system_sgpr_workgroup_id_z 0
		.amdhsa_system_sgpr_workgroup_info 0
		.amdhsa_system_vgpr_workitem_id 0
		.amdhsa_next_free_vgpr 33
		.amdhsa_next_free_sgpr 64
		.amdhsa_accum_offset 36
		.amdhsa_reserve_vcc 1
		.amdhsa_float_round_mode_32 0
		.amdhsa_float_round_mode_16_64 0
		.amdhsa_float_denorm_mode_32 3
		.amdhsa_float_denorm_mode_16_64 3
		.amdhsa_dx10_clamp 1
		.amdhsa_ieee_mode 1
		.amdhsa_fp16_overflow 0
		.amdhsa_tg_split 0
		.amdhsa_exception_fp_ieee_invalid_op 0
		.amdhsa_exception_fp_denorm_src 0
		.amdhsa_exception_fp_ieee_div_zero 0
		.amdhsa_exception_fp_ieee_overflow 0
		.amdhsa_exception_fp_ieee_underflow 0
		.amdhsa_exception_fp_ieee_inexact 0
		.amdhsa_exception_int_div_zero 0
	.end_amdhsa_kernel
	.section	.text._ZN2at6native12_GLOBAL__N_121reflection_pad1d_flatIiEEvPKT_PS3_lllll,"axG",@progbits,_ZN2at6native12_GLOBAL__N_121reflection_pad1d_flatIiEEvPKT_PS3_lllll,comdat
.Lfunc_end28:
	.size	_ZN2at6native12_GLOBAL__N_121reflection_pad1d_flatIiEEvPKT_PS3_lllll, .Lfunc_end28-_ZN2at6native12_GLOBAL__N_121reflection_pad1d_flatIiEEvPKT_PS3_lllll
                                        ; -- End function
	.set _ZN2at6native12_GLOBAL__N_121reflection_pad1d_flatIiEEvPKT_PS3_lllll.num_vgpr, 33
	.set _ZN2at6native12_GLOBAL__N_121reflection_pad1d_flatIiEEvPKT_PS3_lllll.num_agpr, 0
	.set _ZN2at6native12_GLOBAL__N_121reflection_pad1d_flatIiEEvPKT_PS3_lllll.numbered_sgpr, 64
	.set _ZN2at6native12_GLOBAL__N_121reflection_pad1d_flatIiEEvPKT_PS3_lllll.num_named_barrier, 0
	.set _ZN2at6native12_GLOBAL__N_121reflection_pad1d_flatIiEEvPKT_PS3_lllll.private_seg_size, 0
	.set _ZN2at6native12_GLOBAL__N_121reflection_pad1d_flatIiEEvPKT_PS3_lllll.uses_vcc, 1
	.set _ZN2at6native12_GLOBAL__N_121reflection_pad1d_flatIiEEvPKT_PS3_lllll.uses_flat_scratch, 0
	.set _ZN2at6native12_GLOBAL__N_121reflection_pad1d_flatIiEEvPKT_PS3_lllll.has_dyn_sized_stack, 0
	.set _ZN2at6native12_GLOBAL__N_121reflection_pad1d_flatIiEEvPKT_PS3_lllll.has_recursion, 0
	.set _ZN2at6native12_GLOBAL__N_121reflection_pad1d_flatIiEEvPKT_PS3_lllll.has_indirect_call, 0
	.section	.AMDGPU.csdata,"",@progbits
; Kernel info:
; codeLenInByte = 6684
; TotalNumSgprs: 70
; NumVgprs: 33
; NumAgprs: 0
; TotalNumVgprs: 33
; ScratchSize: 0
; MemoryBound: 0
; FloatMode: 240
; IeeeMode: 1
; LDSByteSize: 0 bytes/workgroup (compile time only)
; SGPRBlocks: 8
; VGPRBlocks: 4
; NumSGPRsForWavesPerEU: 70
; NumVGPRsForWavesPerEU: 33
; AccumOffset: 36
; Occupancy: 8
; WaveLimiterHint : 0
; COMPUTE_PGM_RSRC2:SCRATCH_EN: 0
; COMPUTE_PGM_RSRC2:USER_SGPR: 2
; COMPUTE_PGM_RSRC2:TRAP_HANDLER: 0
; COMPUTE_PGM_RSRC2:TGID_X_EN: 1
; COMPUTE_PGM_RSRC2:TGID_Y_EN: 0
; COMPUTE_PGM_RSRC2:TGID_Z_EN: 0
; COMPUTE_PGM_RSRC2:TIDIG_COMP_CNT: 0
; COMPUTE_PGM_RSRC3_GFX90A:ACCUM_OFFSET: 8
; COMPUTE_PGM_RSRC3_GFX90A:TG_SPLIT: 0
	.section	.text._ZN2at6native12_GLOBAL__N_127reflection_pad1d_out_kernelIlEEvPKT_PS3_lll,"axG",@progbits,_ZN2at6native12_GLOBAL__N_127reflection_pad1d_out_kernelIlEEvPKT_PS3_lll,comdat
	.globl	_ZN2at6native12_GLOBAL__N_127reflection_pad1d_out_kernelIlEEvPKT_PS3_lll ; -- Begin function _ZN2at6native12_GLOBAL__N_127reflection_pad1d_out_kernelIlEEvPKT_PS3_lll
	.p2align	8
	.type	_ZN2at6native12_GLOBAL__N_127reflection_pad1d_out_kernelIlEEvPKT_PS3_lll,@function
_ZN2at6native12_GLOBAL__N_127reflection_pad1d_out_kernelIlEEvPKT_PS3_lll: ; @_ZN2at6native12_GLOBAL__N_127reflection_pad1d_out_kernelIlEEvPKT_PS3_lll
; %bb.0:
	s_load_dword s5, s[0:1], 0x34
	s_load_dwordx2 s[16:17], s[0:1], 0x20
	s_load_dwordx8 s[8:15], s[0:1], 0x0
	s_add_u32 s6, s0, 40
	s_addc_u32 s7, s1, 0
	s_waitcnt lgkmcnt(0)
	s_and_b32 s0, s5, 0xffff
	v_mov_b32_e32 v1, 0
	v_mov_b32_e32 v2, s2
	s_add_u32 s2, s14, s12
	v_mad_u64_u32 v[0:1], s[0:1], s0, v2, v[0:1]
	s_addc_u32 s5, s15, s13
	s_add_u32 s0, s2, s16
	s_addc_u32 s1, s5, s17
	v_cmp_gt_i64_e32 vcc, s[0:1], v[0:1]
	s_and_saveexec_b64 s[16:17], vcc
	s_cbranch_execz .LBB29_2
; %bb.1:
	s_load_dword s16, s[6:7], 0x4
	s_sub_u32 s6, 0, s14
	v_mov_b32_e32 v4, s15
	v_subrev_co_u32_e32 v5, vcc, s14, v0
	s_waitcnt lgkmcnt(0)
	s_mul_i32 s4, s16, s4
	s_subb_u32 s7, 0, s15
	s_add_i32 s4, s4, s3
	v_subb_co_u32_e32 v4, vcc, v1, v4, vcc
	v_mov_b32_e32 v2, s8
	s_mul_i32 s3, s13, s4
	s_mul_hi_u32 s8, s12, s4
	v_ashrrev_i32_e32 v6, 31, v4
	v_mov_b32_e32 v3, s9
	s_add_i32 s9, s8, s3
	s_mul_i32 s1, s1, s4
	s_mul_hi_u32 s3, s0, s4
	v_xor_b32_e32 v7, v4, v6
	v_xor_b32_e32 v4, v5, v6
	s_mul_i32 s8, s12, s4
	s_add_i32 s1, s3, s1
	v_cmp_gt_i64_e64 s[12:13], s[6:7], 0
	v_sub_co_u32_e32 v4, vcc, v4, v6
	s_and_b64 s[12:13], s[12:13], exec
	s_nop 0
	v_subb_co_u32_e32 v5, vcc, v7, v6, vcc
	s_cselect_b32 s12, s7, 0
	s_cselect_b32 s13, s6, 0
	v_cmp_gt_i64_e64 s[6:7], s[14:15], 0
	v_mov_b32_e32 v7, s5
	v_subrev_co_u32_e32 v6, vcc, s2, v0
	s_and_b64 s[6:7], s[6:7], exec
	s_nop 0
	v_subb_co_u32_e32 v7, vcc, v1, v7, vcc
	s_cselect_b32 s7, s15, 0
	s_cselect_b32 s6, s14, 0
	v_lshl_add_u64 v[6:7], v[6:7], 0, 1
	s_add_u32 s14, s2, s14
	v_ashrrev_i32_e32 v8, 31, v7
	s_addc_u32 s5, s5, s15
	s_not_b64 s[2:3], s[6:7]
	v_xor_b32_e32 v6, v6, v8
	s_add_u32 s2, s14, s2
	v_xor_b32_e32 v7, v7, v8
	v_sub_co_u32_e32 v6, vcc, v6, v8
	s_addc_u32 s3, s5, s3
	s_nop 0
	v_subb_co_u32_e32 v7, vcc, v7, v8, vcc
	s_add_u32 s2, s2, s13
	v_lshl_add_u64 v[6:7], v[0:1], 0, v[6:7]
	s_addc_u32 s3, s3, s12
	v_mov_b32_e32 v8, s3
	v_sub_co_u32_e32 v6, vcc, s2, v6
	s_mul_i32 s0, s0, s4
	s_nop 0
	v_subb_co_u32_e32 v7, vcc, v8, v7, vcc
	v_lshl_add_u64 v[2:3], v[6:7], 3, v[2:3]
	v_lshl_add_u64 v[2:3], v[4:5], 3, v[2:3]
	;; [unrolled: 1-line block ×3, first 2 shown]
	global_load_dwordx2 v[2:3], v[2:3], off
	s_lshl_b64 s[0:1], s[0:1], 3
	s_add_u32 s0, s10, s0
	s_addc_u32 s1, s11, s1
	v_lshl_add_u64 v[0:1], v[0:1], 3, s[0:1]
	s_waitcnt vmcnt(0)
	global_store_dwordx2 v[0:1], v[2:3], off
.LBB29_2:
	s_endpgm
	.section	.rodata,"a",@progbits
	.p2align	6, 0x0
	.amdhsa_kernel _ZN2at6native12_GLOBAL__N_127reflection_pad1d_out_kernelIlEEvPKT_PS3_lll
		.amdhsa_group_segment_fixed_size 0
		.amdhsa_private_segment_fixed_size 0
		.amdhsa_kernarg_size 296
		.amdhsa_user_sgpr_count 2
		.amdhsa_user_sgpr_dispatch_ptr 0
		.amdhsa_user_sgpr_queue_ptr 0
		.amdhsa_user_sgpr_kernarg_segment_ptr 1
		.amdhsa_user_sgpr_dispatch_id 0
		.amdhsa_user_sgpr_kernarg_preload_length 0
		.amdhsa_user_sgpr_kernarg_preload_offset 0
		.amdhsa_user_sgpr_private_segment_size 0
		.amdhsa_uses_dynamic_stack 0
		.amdhsa_enable_private_segment 0
		.amdhsa_system_sgpr_workgroup_id_x 1
		.amdhsa_system_sgpr_workgroup_id_y 1
		.amdhsa_system_sgpr_workgroup_id_z 1
		.amdhsa_system_sgpr_workgroup_info 0
		.amdhsa_system_vgpr_workitem_id 0
		.amdhsa_next_free_vgpr 9
		.amdhsa_next_free_sgpr 18
		.amdhsa_accum_offset 12
		.amdhsa_reserve_vcc 1
		.amdhsa_float_round_mode_32 0
		.amdhsa_float_round_mode_16_64 0
		.amdhsa_float_denorm_mode_32 3
		.amdhsa_float_denorm_mode_16_64 3
		.amdhsa_dx10_clamp 1
		.amdhsa_ieee_mode 1
		.amdhsa_fp16_overflow 0
		.amdhsa_tg_split 0
		.amdhsa_exception_fp_ieee_invalid_op 0
		.amdhsa_exception_fp_denorm_src 0
		.amdhsa_exception_fp_ieee_div_zero 0
		.amdhsa_exception_fp_ieee_overflow 0
		.amdhsa_exception_fp_ieee_underflow 0
		.amdhsa_exception_fp_ieee_inexact 0
		.amdhsa_exception_int_div_zero 0
	.end_amdhsa_kernel
	.section	.text._ZN2at6native12_GLOBAL__N_127reflection_pad1d_out_kernelIlEEvPKT_PS3_lll,"axG",@progbits,_ZN2at6native12_GLOBAL__N_127reflection_pad1d_out_kernelIlEEvPKT_PS3_lll,comdat
.Lfunc_end29:
	.size	_ZN2at6native12_GLOBAL__N_127reflection_pad1d_out_kernelIlEEvPKT_PS3_lll, .Lfunc_end29-_ZN2at6native12_GLOBAL__N_127reflection_pad1d_out_kernelIlEEvPKT_PS3_lll
                                        ; -- End function
	.set _ZN2at6native12_GLOBAL__N_127reflection_pad1d_out_kernelIlEEvPKT_PS3_lll.num_vgpr, 9
	.set _ZN2at6native12_GLOBAL__N_127reflection_pad1d_out_kernelIlEEvPKT_PS3_lll.num_agpr, 0
	.set _ZN2at6native12_GLOBAL__N_127reflection_pad1d_out_kernelIlEEvPKT_PS3_lll.numbered_sgpr, 18
	.set _ZN2at6native12_GLOBAL__N_127reflection_pad1d_out_kernelIlEEvPKT_PS3_lll.num_named_barrier, 0
	.set _ZN2at6native12_GLOBAL__N_127reflection_pad1d_out_kernelIlEEvPKT_PS3_lll.private_seg_size, 0
	.set _ZN2at6native12_GLOBAL__N_127reflection_pad1d_out_kernelIlEEvPKT_PS3_lll.uses_vcc, 1
	.set _ZN2at6native12_GLOBAL__N_127reflection_pad1d_out_kernelIlEEvPKT_PS3_lll.uses_flat_scratch, 0
	.set _ZN2at6native12_GLOBAL__N_127reflection_pad1d_out_kernelIlEEvPKT_PS3_lll.has_dyn_sized_stack, 0
	.set _ZN2at6native12_GLOBAL__N_127reflection_pad1d_out_kernelIlEEvPKT_PS3_lll.has_recursion, 0
	.set _ZN2at6native12_GLOBAL__N_127reflection_pad1d_out_kernelIlEEvPKT_PS3_lll.has_indirect_call, 0
	.section	.AMDGPU.csdata,"",@progbits
; Kernel info:
; codeLenInByte = 400
; TotalNumSgprs: 24
; NumVgprs: 9
; NumAgprs: 0
; TotalNumVgprs: 9
; ScratchSize: 0
; MemoryBound: 0
; FloatMode: 240
; IeeeMode: 1
; LDSByteSize: 0 bytes/workgroup (compile time only)
; SGPRBlocks: 2
; VGPRBlocks: 1
; NumSGPRsForWavesPerEU: 24
; NumVGPRsForWavesPerEU: 9
; AccumOffset: 12
; Occupancy: 8
; WaveLimiterHint : 0
; COMPUTE_PGM_RSRC2:SCRATCH_EN: 0
; COMPUTE_PGM_RSRC2:USER_SGPR: 2
; COMPUTE_PGM_RSRC2:TRAP_HANDLER: 0
; COMPUTE_PGM_RSRC2:TGID_X_EN: 1
; COMPUTE_PGM_RSRC2:TGID_Y_EN: 1
; COMPUTE_PGM_RSRC2:TGID_Z_EN: 1
; COMPUTE_PGM_RSRC2:TIDIG_COMP_CNT: 0
; COMPUTE_PGM_RSRC3_GFX90A:ACCUM_OFFSET: 2
; COMPUTE_PGM_RSRC3_GFX90A:TG_SPLIT: 0
	.section	.text._ZN2at6native12_GLOBAL__N_121reflection_pad1d_flatIlEEvPKT_PS3_lllll,"axG",@progbits,_ZN2at6native12_GLOBAL__N_121reflection_pad1d_flatIlEEvPKT_PS3_lllll,comdat
	.globl	_ZN2at6native12_GLOBAL__N_121reflection_pad1d_flatIlEEvPKT_PS3_lllll ; -- Begin function _ZN2at6native12_GLOBAL__N_121reflection_pad1d_flatIlEEvPKT_PS3_lllll
	.p2align	8
	.type	_ZN2at6native12_GLOBAL__N_121reflection_pad1d_flatIlEEvPKT_PS3_lllll,@function
_ZN2at6native12_GLOBAL__N_121reflection_pad1d_flatIlEEvPKT_PS3_lllll: ; @_ZN2at6native12_GLOBAL__N_121reflection_pad1d_flatIlEEvPKT_PS3_lllll
; %bb.0:
	s_load_dword s3, s[0:1], 0x44
	s_load_dwordx4 s[12:15], s[0:1], 0x28
	s_add_u32 s16, s0, 56
	v_mov_b32_e32 v2, 0
	s_addc_u32 s17, s1, 0
	s_waitcnt lgkmcnt(0)
	s_and_b32 s3, s3, 0xffff
	s_mul_i32 s4, s14, s13
	s_mul_hi_u32 s5, s14, s12
	v_mov_b32_e32 v1, v2
	s_add_i32 s4, s5, s4
	s_mul_i32 s5, s15, s12
	v_mov_b32_e32 v3, s2
	s_add_i32 s15, s4, s5
	s_mul_i32 s14, s14, s12
	v_mad_u64_u32 v[0:1], s[4:5], s3, v3, v[0:1]
	v_cmp_gt_i64_e32 vcc, s[14:15], v[0:1]
	s_and_saveexec_b64 s[4:5], vcc
	s_cbranch_execz .LBB30_13
; %bb.1:
	v_cvt_f32_u32_e32 v3, s12
	s_load_dword s2, s[16:17], 0x0
	s_load_dwordx8 s[4:11], s[0:1], 0x0
	s_mov_b64 s[16:17], 0
	v_rcp_iflag_f32_e32 v3, v3
	s_waitcnt lgkmcnt(0)
	s_mul_hi_u32 s19, s3, s2
	s_lshl_b64 s[0:1], s[8:9], 1
	s_add_u32 s20, s0, -2
	s_addc_u32 s21, s1, -1
	v_mul_f32_e32 v3, 0x4f7ffffe, v3
	s_sub_u32 s30, 0, s12
	v_cvt_u32_f32_e32 v12, v3
	s_subb_u32 s31, 0, s13
	s_mul_i32 s18, s3, s2
	s_sub_u32 s10, 0, s10
	s_subb_u32 s11, 0, s11
	v_lshl_add_u64 v[4:5], v[0:1], 3, s[6:7]
	s_lshl_b64 s[6:7], s[18:19], 3
	s_ashr_i32 s22, s13, 31
	v_cmp_gt_i64_e64 s[24:25], s[20:21], 0
	s_branch .LBB30_4
.LBB30_2:                               ;   in Loop: Header=BB30_4 Depth=1
	s_or_b64 exec, exec, s[0:1]
	v_ashrrev_i32_e32 v3, 31, v11
	v_and_b32_e32 v9, s21, v3
	v_and_b32_e32 v8, s20, v3
	v_lshl_add_u64 v[8:9], v[8:9], 0, v[10:11]
	v_mov_b32_e32 v3, s21
	v_sub_co_u32_e32 v10, vcc, s20, v8
	s_nop 1
	v_subb_co_u32_e32 v3, vcc, v3, v9, vcc
	v_cmp_gt_i64_e32 vcc, s[8:9], v[8:9]
	s_nop 1
	v_cndmask_b32_e32 v9, v3, v9, vcc
	v_cndmask_b32_e32 v8, v10, v8, vcc
.LBB30_3:                               ;   in Loop: Header=BB30_4 Depth=1
	v_mul_lo_u32 v3, v7, s8
	v_mul_lo_u32 v10, v6, s9
	v_mad_u64_u32 v[6:7], s[0:1], v6, s8, 0
	v_add3_u32 v7, v7, v10, v3
	v_lshl_add_u64 v[6:7], v[6:7], 3, s[4:5]
	v_lshl_add_u64 v[6:7], v[8:9], 3, v[6:7]
	global_load_dwordx2 v[6:7], v[6:7], off
	v_lshl_add_u64 v[0:1], v[0:1], 0, s[18:19]
	v_cmp_le_i64_e32 vcc, s[14:15], v[0:1]
	s_or_b64 s[16:17], vcc, s[16:17]
	s_waitcnt vmcnt(0)
	global_store_dwordx2 v[4:5], v[6:7], off
	v_lshl_add_u64 v[4:5], v[4:5], 0, s[6:7]
	s_andn2_b64 exec, exec, s[16:17]
	s_cbranch_execz .LBB30_13
.LBB30_4:                               ; =>This Inner Loop Header: Depth=1
	v_or_b32_e32 v3, s13, v1
	v_cmp_ne_u64_e32 vcc, 0, v[2:3]
                                        ; implicit-def: $vgpr6_vgpr7
	s_and_saveexec_b64 s[0:1], vcc
	s_xor_b64 s[2:3], exec, s[0:1]
	s_cbranch_execnz .LBB30_7
; %bb.5:                                ;   in Loop: Header=BB30_4 Depth=1
	s_andn2_saveexec_b64 s[0:1], s[2:3]
	s_cbranch_execnz .LBB30_8
.LBB30_6:                               ;   in Loop: Header=BB30_4 Depth=1
	s_or_b64 exec, exec, s[0:1]
	s_andn2_b64 vcc, exec, s[24:25]
	v_mov_b64_e32 v[8:9], 0
	s_cbranch_vccnz .LBB30_3
	s_branch .LBB30_9
.LBB30_7:                               ;   in Loop: Header=BB30_4 Depth=1
	s_add_u32 s0, s12, s22
	s_mov_b32 s23, s22
	s_addc_u32 s1, s13, s22
	s_xor_b64 s[26:27], s[0:1], s[22:23]
	v_cvt_f32_u32_e32 v3, s26
	v_cvt_f32_u32_e32 v6, s27
	s_sub_u32 s23, 0, s26
	s_subb_u32 s28, 0, s27
	v_mov_b32_e32 v11, v2
	v_fmac_f32_e32 v3, 0x4f800000, v6
	v_rcp_f32_e32 v3, v3
	s_nop 0
	v_mul_f32_e32 v3, 0x5f7ffffc, v3
	v_mul_f32_e32 v6, 0x2f800000, v3
	v_trunc_f32_e32 v6, v6
	v_fmac_f32_e32 v3, 0xcf800000, v6
	v_cvt_u32_f32_e32 v6, v6
	v_cvt_u32_f32_e32 v3, v3
	v_readfirstlane_b32 s29, v6
	v_readfirstlane_b32 s0, v3
	s_mul_i32 s1, s23, s29
	s_mul_hi_u32 s34, s23, s0
	s_mul_i32 s33, s28, s0
	s_add_i32 s1, s34, s1
	s_add_i32 s1, s1, s33
	s_mul_i32 s35, s23, s0
	s_mul_i32 s34, s0, s1
	s_mul_hi_u32 s36, s0, s35
	s_mul_hi_u32 s33, s0, s1
	s_add_u32 s34, s36, s34
	s_addc_u32 s33, 0, s33
	s_mul_hi_u32 s37, s29, s35
	s_mul_i32 s35, s29, s35
	s_add_u32 s34, s34, s35
	s_mul_hi_u32 s36, s29, s1
	s_addc_u32 s33, s33, s37
	s_addc_u32 s34, s36, 0
	s_mul_i32 s1, s29, s1
	s_add_u32 s1, s33, s1
	s_addc_u32 s33, 0, s34
	s_add_u32 s34, s0, s1
	s_cselect_b64 s[0:1], -1, 0
	s_cmp_lg_u64 s[0:1], 0
	s_addc_u32 s29, s29, s33
	s_mul_i32 s0, s23, s29
	s_mul_hi_u32 s1, s23, s34
	s_add_i32 s0, s1, s0
	s_mul_i32 s28, s28, s34
	s_add_i32 s0, s0, s28
	s_mul_i32 s23, s23, s34
	s_mul_hi_u32 s28, s29, s23
	s_mul_i32 s33, s29, s23
	s_mul_i32 s36, s34, s0
	s_mul_hi_u32 s23, s34, s23
	s_mul_hi_u32 s35, s34, s0
	s_add_u32 s23, s23, s36
	s_addc_u32 s35, 0, s35
	s_add_u32 s23, s23, s33
	s_mul_hi_u32 s1, s29, s0
	s_addc_u32 s23, s35, s28
	s_addc_u32 s1, s1, 0
	s_mul_i32 s0, s29, s0
	s_add_u32 s0, s23, s0
	s_addc_u32 s23, 0, s1
	s_add_u32 s28, s34, s0
	v_ashrrev_i32_e32 v6, 31, v1
	s_cselect_b64 s[0:1], -1, 0
	v_mov_b32_e32 v7, v6
	s_cmp_lg_u64 s[0:1], 0
	v_lshl_add_u64 v[8:9], v[0:1], 0, v[6:7]
	s_addc_u32 s23, s29, s23
	v_xor_b32_e32 v7, v8, v6
	v_xor_b32_e32 v3, v9, v6
	v_mad_u64_u32 v[8:9], s[0:1], v7, s23, 0
	v_mul_hi_u32 v10, v7, s28
	v_lshl_add_u64 v[8:9], v[10:11], 0, v[8:9]
	v_mad_u64_u32 v[14:15], s[0:1], v3, s28, 0
	v_add_co_u32_e32 v8, vcc, v8, v14
	v_mad_u64_u32 v[10:11], s[0:1], v3, s23, 0
	s_nop 0
	v_addc_co_u32_e32 v8, vcc, v9, v15, vcc
	v_mov_b32_e32 v9, v2
	s_nop 0
	v_addc_co_u32_e32 v11, vcc, 0, v11, vcc
	v_lshl_add_u64 v[8:9], v[8:9], 0, v[10:11]
	v_mul_lo_u32 v13, s27, v8
	v_mul_lo_u32 v14, s26, v9
	v_mad_u64_u32 v[10:11], s[0:1], s26, v8, 0
	v_add3_u32 v13, v11, v14, v13
	v_sub_u32_e32 v11, v3, v13
	v_mov_b32_e32 v14, s27
	v_sub_co_u32_e32 v7, vcc, v7, v10
	s_nop 1
	v_subb_co_u32_e64 v10, s[0:1], v11, v14, vcc
	v_subrev_co_u32_e64 v11, s[0:1], s26, v7
	v_subb_co_u32_e32 v3, vcc, v3, v13, vcc
	s_nop 0
	v_subbrev_co_u32_e64 v10, s[0:1], 0, v10, s[0:1]
	v_cmp_le_u32_e64 s[0:1], s27, v10
	v_cmp_le_u32_e32 vcc, s27, v3
	s_nop 0
	v_cndmask_b32_e64 v14, 0, -1, s[0:1]
	v_cmp_le_u32_e64 s[0:1], s26, v11
	v_cndmask_b32_e64 v13, 0, -1, vcc
	v_cmp_le_u32_e32 vcc, s26, v7
	v_cndmask_b32_e64 v11, 0, -1, s[0:1]
	v_cmp_eq_u32_e64 s[0:1], s27, v10
	v_cndmask_b32_e64 v7, 0, -1, vcc
	v_cmp_eq_u32_e32 vcc, s27, v3
	v_cndmask_b32_e64 v16, v14, v11, s[0:1]
	v_lshl_add_u64 v[10:11], v[8:9], 0, 2
	v_lshl_add_u64 v[14:15], v[8:9], 0, 1
	v_cmp_ne_u32_e64 s[0:1], 0, v16
	v_cndmask_b32_e32 v3, v13, v7, vcc
	v_cmp_ne_u32_e32 vcc, 0, v3
	v_cndmask_b32_e64 v7, v14, v10, s[0:1]
	v_cndmask_b32_e64 v11, v15, v11, s[0:1]
	v_cndmask_b32_e32 v7, v8, v7, vcc
	v_xor_b32_e32 v8, s22, v6
	v_cndmask_b32_e32 v3, v9, v11, vcc
	v_xor_b32_e32 v6, v7, v8
	v_xor_b32_e32 v3, v3, v8
	v_sub_co_u32_e32 v6, vcc, v6, v8
	s_nop 1
	v_subb_co_u32_e32 v7, vcc, v3, v8, vcc
	s_andn2_saveexec_b64 s[0:1], s[2:3]
	s_cbranch_execz .LBB30_6
.LBB30_8:                               ;   in Loop: Header=BB30_4 Depth=1
	s_sub_i32 s2, 0, s12
	v_mul_lo_u32 v3, s2, v12
	v_mul_hi_u32 v3, v12, v3
	v_add_u32_e32 v3, v12, v3
	v_mul_hi_u32 v3, v0, v3
	v_mul_lo_u32 v6, v3, s12
	v_sub_u32_e32 v6, v0, v6
	v_subrev_u32_e32 v7, s12, v6
	v_cmp_le_u32_e32 vcc, s12, v6
	s_nop 1
	v_cndmask_b32_e32 v6, v6, v7, vcc
	v_add_u32_e32 v7, 1, v3
	v_cndmask_b32_e32 v3, v3, v7, vcc
	v_add_u32_e32 v7, 1, v3
	v_cmp_le_u32_e32 vcc, s12, v6
	s_nop 1
	v_cndmask_b32_e32 v6, v3, v7, vcc
	v_mov_b32_e32 v7, v2
	s_or_b64 exec, exec, s[0:1]
	s_andn2_b64 vcc, exec, s[24:25]
	v_mov_b64_e32 v[8:9], 0
	s_cbranch_vccnz .LBB30_3
.LBB30_9:                               ;   in Loop: Header=BB30_4 Depth=1
	v_lshl_add_u64 v[8:9], s[10:11], 0, v[0:1]
	v_mul_lo_u32 v3, s30, v7
	v_mul_lo_u32 v10, s31, v6
	v_mad_u64_u32 v[8:9], s[0:1], s30, v6, v[8:9]
	v_add3_u32 v9, v10, v9, v3
	v_or_b32_e32 v3, s21, v9
	v_cmp_ne_u64_e32 vcc, 0, v[2:3]
                                        ; implicit-def: $vgpr10_vgpr11
	s_and_saveexec_b64 s[0:1], vcc
	s_xor_b64 s[26:27], exec, s[0:1]
	s_cbranch_execz .LBB30_11
; %bb.10:                               ;   in Loop: Header=BB30_4 Depth=1
	s_ashr_i32 s0, s21, 31
	s_add_u32 s2, s20, s0
	s_mov_b32 s1, s0
	s_addc_u32 s3, s21, s0
	s_xor_b64 s[28:29], s[2:3], s[0:1]
	v_cvt_f32_u32_e32 v3, s28
	v_cvt_f32_u32_e32 v10, s29
	s_sub_u32 s2, 0, s28
	s_subb_u32 s3, 0, s29
	v_ashrrev_i32_e32 v14, 31, v9
	v_fmac_f32_e32 v3, 0x4f800000, v10
	v_rcp_f32_e32 v3, v3
	v_mov_b32_e32 v15, v14
	v_lshl_add_u64 v[8:9], v[8:9], 0, v[14:15]
	v_xor_b32_e32 v13, v8, v14
	v_mul_f32_e32 v3, 0x5f7ffffc, v3
	v_mul_f32_e32 v10, 0x2f800000, v3
	v_trunc_f32_e32 v10, v10
	v_fmac_f32_e32 v3, 0xcf800000, v10
	v_cvt_u32_f32_e32 v10, v10
	v_cvt_u32_f32_e32 v3, v3
	v_mov_b32_e32 v11, v2
	v_readfirstlane_b32 s23, v10
	v_readfirstlane_b32 s0, v3
	s_mul_i32 s1, s2, s23
	s_mul_hi_u32 s34, s2, s0
	s_mul_i32 s33, s3, s0
	s_add_i32 s1, s34, s1
	s_add_i32 s1, s1, s33
	s_mul_i32 s35, s2, s0
	s_mul_i32 s34, s0, s1
	s_mul_hi_u32 s36, s0, s35
	s_mul_hi_u32 s33, s0, s1
	s_add_u32 s34, s36, s34
	s_addc_u32 s33, 0, s33
	s_mul_hi_u32 s37, s23, s35
	s_mul_i32 s35, s23, s35
	s_add_u32 s34, s34, s35
	s_mul_hi_u32 s36, s23, s1
	s_addc_u32 s33, s33, s37
	s_addc_u32 s34, s36, 0
	s_mul_i32 s1, s23, s1
	s_add_u32 s1, s33, s1
	s_addc_u32 s33, 0, s34
	s_add_u32 s34, s0, s1
	s_cselect_b64 s[0:1], -1, 0
	s_cmp_lg_u64 s[0:1], 0
	s_addc_u32 s23, s23, s33
	s_mul_i32 s0, s2, s23
	s_mul_hi_u32 s1, s2, s34
	s_add_i32 s0, s1, s0
	s_mul_i32 s3, s3, s34
	s_add_i32 s0, s0, s3
	s_mul_i32 s2, s2, s34
	s_mul_hi_u32 s3, s23, s2
	s_mul_i32 s33, s23, s2
	s_mul_i32 s36, s34, s0
	s_mul_hi_u32 s2, s34, s2
	s_mul_hi_u32 s35, s34, s0
	s_add_u32 s2, s2, s36
	s_addc_u32 s35, 0, s35
	s_add_u32 s2, s2, s33
	s_mul_hi_u32 s1, s23, s0
	s_addc_u32 s2, s35, s3
	s_addc_u32 s1, s1, 0
	s_mul_i32 s0, s23, s0
	s_add_u32 s0, s2, s0
	s_addc_u32 s2, 0, s1
	s_add_u32 s3, s34, s0
	s_cselect_b64 s[0:1], -1, 0
	s_cmp_lg_u64 s[0:1], 0
	s_addc_u32 s2, s23, s2
	v_xor_b32_e32 v3, v9, v14
	v_mad_u64_u32 v[8:9], s[0:1], v13, s2, 0
	v_mul_hi_u32 v10, v13, s3
	v_lshl_add_u64 v[8:9], v[10:11], 0, v[8:9]
	v_mad_u64_u32 v[16:17], s[0:1], v3, s3, 0
	v_add_co_u32_e32 v8, vcc, v8, v16
	v_mad_u64_u32 v[10:11], s[0:1], v3, s2, 0
	s_nop 0
	v_addc_co_u32_e32 v8, vcc, v9, v17, vcc
	v_mov_b32_e32 v9, v2
	s_nop 0
	v_addc_co_u32_e32 v11, vcc, 0, v11, vcc
	v_lshl_add_u64 v[8:9], v[8:9], 0, v[10:11]
	v_mul_lo_u32 v10, s29, v8
	v_mul_lo_u32 v11, s28, v9
	v_mad_u64_u32 v[8:9], s[0:1], s28, v8, 0
	v_add3_u32 v9, v9, v11, v10
	v_sub_u32_e32 v10, v3, v9
	v_mov_b32_e32 v11, s29
	v_sub_co_u32_e32 v8, vcc, v13, v8
	s_nop 1
	v_subb_co_u32_e64 v10, s[0:1], v10, v11, vcc
	v_subrev_co_u32_e64 v13, s[0:1], s28, v8
	v_subb_co_u32_e32 v3, vcc, v3, v9, vcc
	s_nop 0
	v_subbrev_co_u32_e64 v15, s[2:3], 0, v10, s[0:1]
	v_cmp_le_u32_e64 s[2:3], s29, v15
	v_subb_co_u32_e64 v10, s[0:1], v10, v11, s[0:1]
	s_nop 0
	v_cndmask_b32_e64 v16, 0, -1, s[2:3]
	v_cmp_le_u32_e64 s[2:3], s28, v13
	v_subrev_co_u32_e64 v11, s[0:1], s28, v13
	s_nop 0
	v_cndmask_b32_e64 v17, 0, -1, s[2:3]
	v_cmp_eq_u32_e64 s[2:3], s29, v15
	v_subbrev_co_u32_e64 v10, s[0:1], 0, v10, s[0:1]
	s_nop 0
	v_cndmask_b32_e64 v16, v16, v17, s[2:3]
	v_cmp_le_u32_e32 vcc, s29, v3
	v_cmp_ne_u32_e64 s[0:1], 0, v16
	s_nop 0
	v_cndmask_b32_e64 v9, 0, -1, vcc
	v_cmp_le_u32_e32 vcc, s28, v8
	v_cndmask_b32_e64 v10, v15, v10, s[0:1]
	s_nop 0
	v_cndmask_b32_e64 v15, 0, -1, vcc
	v_cmp_eq_u32_e32 vcc, s29, v3
	s_nop 1
	v_cndmask_b32_e32 v9, v9, v15, vcc
	v_cmp_ne_u32_e32 vcc, 0, v9
	v_cndmask_b32_e64 v9, v13, v11, s[0:1]
	s_nop 0
	v_cndmask_b32_e32 v8, v8, v9, vcc
	v_cndmask_b32_e32 v3, v3, v10, vcc
	v_xor_b32_e32 v8, v8, v14
	v_xor_b32_e32 v3, v3, v14
	v_sub_co_u32_e32 v10, vcc, v8, v14
                                        ; implicit-def: $vgpr8_vgpr9
	s_nop 1
	v_subb_co_u32_e32 v11, vcc, v3, v14, vcc
.LBB30_11:                              ;   in Loop: Header=BB30_4 Depth=1
	s_andn2_saveexec_b64 s[0:1], s[26:27]
	s_cbranch_execz .LBB30_2
; %bb.12:                               ;   in Loop: Header=BB30_4 Depth=1
	v_cvt_f32_u32_e32 v3, s20
	s_sub_i32 s2, 0, s20
	v_mov_b32_e32 v11, v2
	v_rcp_iflag_f32_e32 v3, v3
	s_nop 0
	v_mul_f32_e32 v3, 0x4f7ffffe, v3
	v_cvt_u32_f32_e32 v3, v3
	v_mul_lo_u32 v9, s2, v3
	v_mul_hi_u32 v9, v3, v9
	v_add_u32_e32 v3, v3, v9
	v_mul_hi_u32 v3, v8, v3
	v_mul_lo_u32 v3, v3, s20
	v_sub_u32_e32 v3, v8, v3
	v_subrev_u32_e32 v8, s20, v3
	v_cmp_le_u32_e32 vcc, s20, v3
	s_nop 1
	v_cndmask_b32_e32 v3, v3, v8, vcc
	v_subrev_u32_e32 v8, s20, v3
	v_cmp_le_u32_e32 vcc, s20, v3
	s_nop 1
	v_cndmask_b32_e32 v10, v3, v8, vcc
	s_branch .LBB30_2
.LBB30_13:
	s_endpgm
	.section	.rodata,"a",@progbits
	.p2align	6, 0x0
	.amdhsa_kernel _ZN2at6native12_GLOBAL__N_121reflection_pad1d_flatIlEEvPKT_PS3_lllll
		.amdhsa_group_segment_fixed_size 0
		.amdhsa_private_segment_fixed_size 0
		.amdhsa_kernarg_size 312
		.amdhsa_user_sgpr_count 2
		.amdhsa_user_sgpr_dispatch_ptr 0
		.amdhsa_user_sgpr_queue_ptr 0
		.amdhsa_user_sgpr_kernarg_segment_ptr 1
		.amdhsa_user_sgpr_dispatch_id 0
		.amdhsa_user_sgpr_kernarg_preload_length 0
		.amdhsa_user_sgpr_kernarg_preload_offset 0
		.amdhsa_user_sgpr_private_segment_size 0
		.amdhsa_uses_dynamic_stack 0
		.amdhsa_enable_private_segment 0
		.amdhsa_system_sgpr_workgroup_id_x 1
		.amdhsa_system_sgpr_workgroup_id_y 0
		.amdhsa_system_sgpr_workgroup_id_z 0
		.amdhsa_system_sgpr_workgroup_info 0
		.amdhsa_system_vgpr_workitem_id 0
		.amdhsa_next_free_vgpr 18
		.amdhsa_next_free_sgpr 38
		.amdhsa_accum_offset 20
		.amdhsa_reserve_vcc 1
		.amdhsa_float_round_mode_32 0
		.amdhsa_float_round_mode_16_64 0
		.amdhsa_float_denorm_mode_32 3
		.amdhsa_float_denorm_mode_16_64 3
		.amdhsa_dx10_clamp 1
		.amdhsa_ieee_mode 1
		.amdhsa_fp16_overflow 0
		.amdhsa_tg_split 0
		.amdhsa_exception_fp_ieee_invalid_op 0
		.amdhsa_exception_fp_denorm_src 0
		.amdhsa_exception_fp_ieee_div_zero 0
		.amdhsa_exception_fp_ieee_overflow 0
		.amdhsa_exception_fp_ieee_underflow 0
		.amdhsa_exception_fp_ieee_inexact 0
		.amdhsa_exception_int_div_zero 0
	.end_amdhsa_kernel
	.section	.text._ZN2at6native12_GLOBAL__N_121reflection_pad1d_flatIlEEvPKT_PS3_lllll,"axG",@progbits,_ZN2at6native12_GLOBAL__N_121reflection_pad1d_flatIlEEvPKT_PS3_lllll,comdat
.Lfunc_end30:
	.size	_ZN2at6native12_GLOBAL__N_121reflection_pad1d_flatIlEEvPKT_PS3_lllll, .Lfunc_end30-_ZN2at6native12_GLOBAL__N_121reflection_pad1d_flatIlEEvPKT_PS3_lllll
                                        ; -- End function
	.set _ZN2at6native12_GLOBAL__N_121reflection_pad1d_flatIlEEvPKT_PS3_lllll.num_vgpr, 18
	.set _ZN2at6native12_GLOBAL__N_121reflection_pad1d_flatIlEEvPKT_PS3_lllll.num_agpr, 0
	.set _ZN2at6native12_GLOBAL__N_121reflection_pad1d_flatIlEEvPKT_PS3_lllll.numbered_sgpr, 38
	.set _ZN2at6native12_GLOBAL__N_121reflection_pad1d_flatIlEEvPKT_PS3_lllll.num_named_barrier, 0
	.set _ZN2at6native12_GLOBAL__N_121reflection_pad1d_flatIlEEvPKT_PS3_lllll.private_seg_size, 0
	.set _ZN2at6native12_GLOBAL__N_121reflection_pad1d_flatIlEEvPKT_PS3_lllll.uses_vcc, 1
	.set _ZN2at6native12_GLOBAL__N_121reflection_pad1d_flatIlEEvPKT_PS3_lllll.uses_flat_scratch, 0
	.set _ZN2at6native12_GLOBAL__N_121reflection_pad1d_flatIlEEvPKT_PS3_lllll.has_dyn_sized_stack, 0
	.set _ZN2at6native12_GLOBAL__N_121reflection_pad1d_flatIlEEvPKT_PS3_lllll.has_recursion, 0
	.set _ZN2at6native12_GLOBAL__N_121reflection_pad1d_flatIlEEvPKT_PS3_lllll.has_indirect_call, 0
	.section	.AMDGPU.csdata,"",@progbits
; Kernel info:
; codeLenInByte = 1972
; TotalNumSgprs: 44
; NumVgprs: 18
; NumAgprs: 0
; TotalNumVgprs: 18
; ScratchSize: 0
; MemoryBound: 0
; FloatMode: 240
; IeeeMode: 1
; LDSByteSize: 0 bytes/workgroup (compile time only)
; SGPRBlocks: 5
; VGPRBlocks: 2
; NumSGPRsForWavesPerEU: 44
; NumVGPRsForWavesPerEU: 18
; AccumOffset: 20
; Occupancy: 8
; WaveLimiterHint : 0
; COMPUTE_PGM_RSRC2:SCRATCH_EN: 0
; COMPUTE_PGM_RSRC2:USER_SGPR: 2
; COMPUTE_PGM_RSRC2:TRAP_HANDLER: 0
; COMPUTE_PGM_RSRC2:TGID_X_EN: 1
; COMPUTE_PGM_RSRC2:TGID_Y_EN: 0
; COMPUTE_PGM_RSRC2:TGID_Z_EN: 0
; COMPUTE_PGM_RSRC2:TIDIG_COMP_CNT: 0
; COMPUTE_PGM_RSRC3_GFX90A:ACCUM_OFFSET: 4
; COMPUTE_PGM_RSRC3_GFX90A:TG_SPLIT: 0
	.section	.text._ZN2at6native12_GLOBAL__N_127reflection_pad1d_out_kernelIsEEvPKT_PS3_lll,"axG",@progbits,_ZN2at6native12_GLOBAL__N_127reflection_pad1d_out_kernelIsEEvPKT_PS3_lll,comdat
	.globl	_ZN2at6native12_GLOBAL__N_127reflection_pad1d_out_kernelIsEEvPKT_PS3_lll ; -- Begin function _ZN2at6native12_GLOBAL__N_127reflection_pad1d_out_kernelIsEEvPKT_PS3_lll
	.p2align	8
	.type	_ZN2at6native12_GLOBAL__N_127reflection_pad1d_out_kernelIsEEvPKT_PS3_lll,@function
_ZN2at6native12_GLOBAL__N_127reflection_pad1d_out_kernelIsEEvPKT_PS3_lll: ; @_ZN2at6native12_GLOBAL__N_127reflection_pad1d_out_kernelIsEEvPKT_PS3_lll
; %bb.0:
	s_load_dword s5, s[0:1], 0x34
	s_load_dwordx2 s[16:17], s[0:1], 0x20
	s_load_dwordx8 s[8:15], s[0:1], 0x0
	s_add_u32 s6, s0, 40
	s_addc_u32 s7, s1, 0
	s_waitcnt lgkmcnt(0)
	s_and_b32 s0, s5, 0xffff
	v_mov_b32_e32 v1, 0
	v_mov_b32_e32 v2, s2
	s_add_u32 s2, s14, s12
	v_mad_u64_u32 v[0:1], s[0:1], s0, v2, v[0:1]
	s_addc_u32 s5, s15, s13
	s_add_u32 s0, s2, s16
	s_addc_u32 s1, s5, s17
	v_cmp_gt_i64_e32 vcc, s[0:1], v[0:1]
	s_and_saveexec_b64 s[16:17], vcc
	s_cbranch_execz .LBB31_2
; %bb.1:
	s_load_dword s16, s[6:7], 0x4
	s_sub_u32 s6, 0, s14
	v_mov_b32_e32 v4, s15
	v_subrev_co_u32_e32 v5, vcc, s14, v0
	s_waitcnt lgkmcnt(0)
	s_mul_i32 s4, s16, s4
	s_subb_u32 s7, 0, s15
	s_add_i32 s4, s4, s3
	v_subb_co_u32_e32 v4, vcc, v1, v4, vcc
	v_mov_b32_e32 v2, s8
	s_mul_i32 s3, s13, s4
	s_mul_hi_u32 s8, s12, s4
	v_ashrrev_i32_e32 v6, 31, v4
	v_mov_b32_e32 v3, s9
	s_add_i32 s9, s8, s3
	s_mul_i32 s1, s1, s4
	s_mul_hi_u32 s3, s0, s4
	v_xor_b32_e32 v7, v4, v6
	v_xor_b32_e32 v4, v5, v6
	s_mul_i32 s8, s12, s4
	s_add_i32 s1, s3, s1
	v_cmp_gt_i64_e64 s[12:13], s[6:7], 0
	v_sub_co_u32_e32 v4, vcc, v4, v6
	s_and_b64 s[12:13], s[12:13], exec
	s_nop 0
	v_subb_co_u32_e32 v5, vcc, v7, v6, vcc
	s_cselect_b32 s12, s7, 0
	s_cselect_b32 s13, s6, 0
	v_cmp_gt_i64_e64 s[6:7], s[14:15], 0
	v_mov_b32_e32 v7, s5
	v_subrev_co_u32_e32 v6, vcc, s2, v0
	s_and_b64 s[6:7], s[6:7], exec
	s_nop 0
	v_subb_co_u32_e32 v7, vcc, v1, v7, vcc
	s_cselect_b32 s7, s15, 0
	s_cselect_b32 s6, s14, 0
	v_lshl_add_u64 v[6:7], v[6:7], 0, 1
	s_add_u32 s14, s2, s14
	v_ashrrev_i32_e32 v8, 31, v7
	s_addc_u32 s5, s5, s15
	s_not_b64 s[2:3], s[6:7]
	v_xor_b32_e32 v6, v6, v8
	s_add_u32 s2, s14, s2
	v_xor_b32_e32 v7, v7, v8
	v_sub_co_u32_e32 v6, vcc, v6, v8
	s_addc_u32 s3, s5, s3
	s_nop 0
	v_subb_co_u32_e32 v7, vcc, v7, v8, vcc
	s_add_u32 s2, s2, s13
	v_lshl_add_u64 v[6:7], v[0:1], 0, v[6:7]
	s_addc_u32 s3, s3, s12
	v_mov_b32_e32 v8, s3
	v_sub_co_u32_e32 v6, vcc, s2, v6
	s_mul_i32 s0, s0, s4
	s_nop 0
	v_subb_co_u32_e32 v7, vcc, v8, v7, vcc
	v_lshl_add_u64 v[2:3], v[6:7], 1, v[2:3]
	v_lshl_add_u64 v[2:3], v[4:5], 1, v[2:3]
	;; [unrolled: 1-line block ×3, first 2 shown]
	global_load_ushort v2, v[2:3], off
	s_lshl_b64 s[0:1], s[0:1], 1
	s_add_u32 s0, s10, s0
	s_addc_u32 s1, s11, s1
	v_lshl_add_u64 v[0:1], v[0:1], 1, s[0:1]
	s_waitcnt vmcnt(0)
	global_store_short v[0:1], v2, off
.LBB31_2:
	s_endpgm
	.section	.rodata,"a",@progbits
	.p2align	6, 0x0
	.amdhsa_kernel _ZN2at6native12_GLOBAL__N_127reflection_pad1d_out_kernelIsEEvPKT_PS3_lll
		.amdhsa_group_segment_fixed_size 0
		.amdhsa_private_segment_fixed_size 0
		.amdhsa_kernarg_size 296
		.amdhsa_user_sgpr_count 2
		.amdhsa_user_sgpr_dispatch_ptr 0
		.amdhsa_user_sgpr_queue_ptr 0
		.amdhsa_user_sgpr_kernarg_segment_ptr 1
		.amdhsa_user_sgpr_dispatch_id 0
		.amdhsa_user_sgpr_kernarg_preload_length 0
		.amdhsa_user_sgpr_kernarg_preload_offset 0
		.amdhsa_user_sgpr_private_segment_size 0
		.amdhsa_uses_dynamic_stack 0
		.amdhsa_enable_private_segment 0
		.amdhsa_system_sgpr_workgroup_id_x 1
		.amdhsa_system_sgpr_workgroup_id_y 1
		.amdhsa_system_sgpr_workgroup_id_z 1
		.amdhsa_system_sgpr_workgroup_info 0
		.amdhsa_system_vgpr_workitem_id 0
		.amdhsa_next_free_vgpr 9
		.amdhsa_next_free_sgpr 18
		.amdhsa_accum_offset 12
		.amdhsa_reserve_vcc 1
		.amdhsa_float_round_mode_32 0
		.amdhsa_float_round_mode_16_64 0
		.amdhsa_float_denorm_mode_32 3
		.amdhsa_float_denorm_mode_16_64 3
		.amdhsa_dx10_clamp 1
		.amdhsa_ieee_mode 1
		.amdhsa_fp16_overflow 0
		.amdhsa_tg_split 0
		.amdhsa_exception_fp_ieee_invalid_op 0
		.amdhsa_exception_fp_denorm_src 0
		.amdhsa_exception_fp_ieee_div_zero 0
		.amdhsa_exception_fp_ieee_overflow 0
		.amdhsa_exception_fp_ieee_underflow 0
		.amdhsa_exception_fp_ieee_inexact 0
		.amdhsa_exception_int_div_zero 0
	.end_amdhsa_kernel
	.section	.text._ZN2at6native12_GLOBAL__N_127reflection_pad1d_out_kernelIsEEvPKT_PS3_lll,"axG",@progbits,_ZN2at6native12_GLOBAL__N_127reflection_pad1d_out_kernelIsEEvPKT_PS3_lll,comdat
.Lfunc_end31:
	.size	_ZN2at6native12_GLOBAL__N_127reflection_pad1d_out_kernelIsEEvPKT_PS3_lll, .Lfunc_end31-_ZN2at6native12_GLOBAL__N_127reflection_pad1d_out_kernelIsEEvPKT_PS3_lll
                                        ; -- End function
	.set _ZN2at6native12_GLOBAL__N_127reflection_pad1d_out_kernelIsEEvPKT_PS3_lll.num_vgpr, 9
	.set _ZN2at6native12_GLOBAL__N_127reflection_pad1d_out_kernelIsEEvPKT_PS3_lll.num_agpr, 0
	.set _ZN2at6native12_GLOBAL__N_127reflection_pad1d_out_kernelIsEEvPKT_PS3_lll.numbered_sgpr, 18
	.set _ZN2at6native12_GLOBAL__N_127reflection_pad1d_out_kernelIsEEvPKT_PS3_lll.num_named_barrier, 0
	.set _ZN2at6native12_GLOBAL__N_127reflection_pad1d_out_kernelIsEEvPKT_PS3_lll.private_seg_size, 0
	.set _ZN2at6native12_GLOBAL__N_127reflection_pad1d_out_kernelIsEEvPKT_PS3_lll.uses_vcc, 1
	.set _ZN2at6native12_GLOBAL__N_127reflection_pad1d_out_kernelIsEEvPKT_PS3_lll.uses_flat_scratch, 0
	.set _ZN2at6native12_GLOBAL__N_127reflection_pad1d_out_kernelIsEEvPKT_PS3_lll.has_dyn_sized_stack, 0
	.set _ZN2at6native12_GLOBAL__N_127reflection_pad1d_out_kernelIsEEvPKT_PS3_lll.has_recursion, 0
	.set _ZN2at6native12_GLOBAL__N_127reflection_pad1d_out_kernelIsEEvPKT_PS3_lll.has_indirect_call, 0
	.section	.AMDGPU.csdata,"",@progbits
; Kernel info:
; codeLenInByte = 400
; TotalNumSgprs: 24
; NumVgprs: 9
; NumAgprs: 0
; TotalNumVgprs: 9
; ScratchSize: 0
; MemoryBound: 0
; FloatMode: 240
; IeeeMode: 1
; LDSByteSize: 0 bytes/workgroup (compile time only)
; SGPRBlocks: 2
; VGPRBlocks: 1
; NumSGPRsForWavesPerEU: 24
; NumVGPRsForWavesPerEU: 9
; AccumOffset: 12
; Occupancy: 8
; WaveLimiterHint : 0
; COMPUTE_PGM_RSRC2:SCRATCH_EN: 0
; COMPUTE_PGM_RSRC2:USER_SGPR: 2
; COMPUTE_PGM_RSRC2:TRAP_HANDLER: 0
; COMPUTE_PGM_RSRC2:TGID_X_EN: 1
; COMPUTE_PGM_RSRC2:TGID_Y_EN: 1
; COMPUTE_PGM_RSRC2:TGID_Z_EN: 1
; COMPUTE_PGM_RSRC2:TIDIG_COMP_CNT: 0
; COMPUTE_PGM_RSRC3_GFX90A:ACCUM_OFFSET: 2
; COMPUTE_PGM_RSRC3_GFX90A:TG_SPLIT: 0
	.section	.text._ZN2at6native12_GLOBAL__N_121reflection_pad1d_flatIsEEvPKT_PS3_lllll,"axG",@progbits,_ZN2at6native12_GLOBAL__N_121reflection_pad1d_flatIsEEvPKT_PS3_lllll,comdat
	.globl	_ZN2at6native12_GLOBAL__N_121reflection_pad1d_flatIsEEvPKT_PS3_lllll ; -- Begin function _ZN2at6native12_GLOBAL__N_121reflection_pad1d_flatIsEEvPKT_PS3_lllll
	.p2align	8
	.type	_ZN2at6native12_GLOBAL__N_121reflection_pad1d_flatIsEEvPKT_PS3_lllll,@function
_ZN2at6native12_GLOBAL__N_121reflection_pad1d_flatIsEEvPKT_PS3_lllll: ; @_ZN2at6native12_GLOBAL__N_121reflection_pad1d_flatIsEEvPKT_PS3_lllll
; %bb.0:
	s_load_dword s3, s[0:1], 0x44
	s_load_dwordx4 s[8:11], s[0:1], 0x28
	s_add_u32 s4, s0, 56
	s_addc_u32 s5, s1, 0
	v_mov_b32_e32 v1, 0
	s_waitcnt lgkmcnt(0)
	s_and_b32 s3, s3, 0xffff
	s_mul_i32 s6, s10, s9
	s_mul_hi_u32 s7, s10, s8
	s_add_i32 s6, s7, s6
	s_mul_i32 s7, s11, s8
	v_mov_b32_e32 v2, s2
	s_add_i32 s7, s6, s7
	s_mul_i32 s6, s10, s8
	v_mad_u64_u32 v[2:3], s[10:11], s3, v2, v[0:1]
	v_cmp_gt_i64_e32 vcc, s[6:7], v[2:3]
	s_and_saveexec_b64 s[10:11], vcc
	s_cbranch_execz .LBB32_64
; %bb.1:
	s_load_dword s58, s[4:5], 0x0
	v_mov_b32_e32 v4, s3
	s_mov_b32 s59, 0
	v_mov_b32_e32 v5, s59
	s_waitcnt lgkmcnt(0)
	s_add_u32 s4, s2, s58
	s_addc_u32 s5, 0, 0
	s_mul_i32 s12, s5, s3
	v_mad_u64_u32 v[10:11], s[4:5], s4, v4, v[0:1]
	v_add_u32_e32 v11, s12, v11
	v_mov_b32_e32 v4, s7
	v_cmp_gt_i64_e32 vcc, s[6:7], v[10:11]
	s_mul_hi_u32 s11, s3, s58
	s_mul_i32 s10, s3, s58
	v_cndmask_b32_e32 v9, v11, v4, vcc
	v_mov_b32_e32 v4, s6
	v_cndmask_b32_e32 v8, v10, v4, vcc
	v_cndmask_b32_e64 v4, 0, 1, vcc
	v_lshl_add_u64 v[6:7], v[10:11], 0, v[4:5]
	v_sub_co_u32_e32 v8, vcc, v8, v6
	v_mov_b32_e32 v6, v1
	s_nop 0
	v_subb_co_u32_e32 v9, vcc, v9, v7, vcc
	v_or_b32_e32 v7, s11, v9
	v_cmp_ne_u64_e32 vcc, 0, v[6:7]
                                        ; implicit-def: $vgpr6_vgpr7
	s_and_saveexec_b64 s[4:5], vcc
	s_xor_b64 s[12:13], exec, s[4:5]
	s_cbranch_execz .LBB32_3
; %bb.2:
	v_cvt_f32_u32_e32 v6, s10
	v_cvt_f32_u32_e32 v7, s11
	s_sub_u32 s14, 0, s10
	s_subb_u32 s15, 0, s11
	v_mov_b32_e32 v13, 0
	v_fmamk_f32 v6, v7, 0x4f800000, v6
	v_rcp_f32_e32 v6, v6
	s_nop 0
	v_mul_f32_e32 v6, 0x5f7ffffc, v6
	v_mul_f32_e32 v7, 0x2f800000, v6
	v_trunc_f32_e32 v7, v7
	v_fmamk_f32 v6, v7, 0xcf800000, v6
	v_cvt_u32_f32_e32 v7, v7
	v_cvt_u32_f32_e32 v6, v6
	v_readfirstlane_b32 s16, v7
	v_readfirstlane_b32 s4, v6
	s_mul_i32 s5, s14, s16
	s_mul_hi_u32 s18, s14, s4
	s_mul_i32 s17, s15, s4
	s_add_i32 s5, s18, s5
	s_mul_i32 s19, s14, s4
	s_add_i32 s5, s5, s17
	s_mul_i32 s18, s4, s5
	s_mul_hi_u32 s20, s4, s19
	s_mul_hi_u32 s17, s4, s5
	s_add_u32 s18, s20, s18
	s_addc_u32 s17, 0, s17
	s_mul_hi_u32 s21, s16, s19
	s_mul_i32 s19, s16, s19
	s_add_u32 s18, s18, s19
	s_mul_hi_u32 s20, s16, s5
	s_addc_u32 s17, s17, s21
	s_addc_u32 s18, s20, 0
	s_mul_i32 s5, s16, s5
	s_add_u32 s5, s17, s5
	s_addc_u32 s17, 0, s18
	s_add_u32 s18, s4, s5
	s_cselect_b64 s[4:5], -1, 0
	s_cmp_lg_u64 s[4:5], 0
	s_addc_u32 s16, s16, s17
	s_mul_i32 s4, s14, s16
	s_mul_hi_u32 s5, s14, s18
	s_add_i32 s4, s5, s4
	s_mul_i32 s15, s15, s18
	s_add_i32 s4, s4, s15
	s_mul_i32 s14, s14, s18
	s_mul_hi_u32 s15, s16, s14
	s_mul_i32 s17, s16, s14
	s_mul_i32 s20, s18, s4
	s_mul_hi_u32 s14, s18, s14
	s_mul_hi_u32 s19, s18, s4
	s_add_u32 s14, s14, s20
	s_addc_u32 s19, 0, s19
	s_add_u32 s14, s14, s17
	s_mul_hi_u32 s5, s16, s4
	s_addc_u32 s14, s19, s15
	s_addc_u32 s5, s5, 0
	s_mul_i32 s4, s16, s4
	s_add_u32 s4, s14, s4
	s_addc_u32 s14, 0, s5
	s_add_u32 s15, s18, s4
	s_cselect_b64 s[4:5], -1, 0
	s_cmp_lg_u64 s[4:5], 0
	s_addc_u32 s14, s16, s14
	v_mad_u64_u32 v[6:7], s[4:5], v8, s14, 0
	v_mul_hi_u32 v12, v8, s15
	v_lshl_add_u64 v[6:7], v[12:13], 0, v[6:7]
	v_mad_u64_u32 v[16:17], s[4:5], v9, s15, 0
	v_add_co_u32_e32 v6, vcc, v6, v16
	v_mad_u64_u32 v[14:15], s[4:5], v9, s14, 0
	s_nop 0
	v_addc_co_u32_e32 v12, vcc, v7, v17, vcc
	s_nop 1
	v_addc_co_u32_e32 v15, vcc, 0, v15, vcc
	v_lshl_add_u64 v[6:7], v[12:13], 0, v[14:15]
	v_mul_lo_u32 v14, s11, v6
	v_mul_lo_u32 v15, s10, v7
	v_mad_u64_u32 v[12:13], s[4:5], s10, v6, 0
	v_add3_u32 v16, v13, v15, v14
	v_sub_u32_e32 v13, v9, v16
	v_mov_b32_e32 v14, s11
	v_sub_co_u32_e32 v8, vcc, v8, v12
	s_nop 1
	v_subb_co_u32_e64 v12, s[4:5], v13, v14, vcc
	v_subrev_co_u32_e64 v13, s[4:5], s10, v8
	v_subb_co_u32_e32 v9, vcc, v9, v16, vcc
	s_nop 0
	v_subbrev_co_u32_e64 v12, s[4:5], 0, v12, s[4:5]
	v_cmp_le_u32_e64 s[4:5], s11, v12
	v_cmp_le_u32_e32 vcc, s11, v9
	s_nop 0
	v_cndmask_b32_e64 v14, 0, -1, s[4:5]
	v_cmp_le_u32_e64 s[4:5], s10, v13
	s_nop 1
	v_cndmask_b32_e64 v13, 0, -1, s[4:5]
	v_cmp_eq_u32_e64 s[4:5], s11, v12
	s_nop 1
	v_cndmask_b32_e64 v17, v14, v13, s[4:5]
	v_lshl_add_u64 v[12:13], v[6:7], 0, 2
	v_lshl_add_u64 v[14:15], v[6:7], 0, 1
	v_cmp_ne_u32_e64 s[4:5], 0, v17
	s_nop 1
	v_cndmask_b32_e64 v13, v15, v13, s[4:5]
	v_cndmask_b32_e64 v15, 0, -1, vcc
	v_cmp_le_u32_e32 vcc, s10, v8
	s_nop 1
	v_cndmask_b32_e64 v8, 0, -1, vcc
	v_cmp_eq_u32_e32 vcc, s11, v9
	s_nop 1
	v_cndmask_b32_e32 v8, v15, v8, vcc
	v_cmp_ne_u32_e32 vcc, 0, v8
	v_cndmask_b32_e64 v8, v14, v12, s[4:5]
	s_nop 0
	v_cndmask_b32_e32 v7, v7, v13, vcc
	v_cndmask_b32_e32 v6, v6, v8, vcc
                                        ; implicit-def: $vgpr8
.LBB32_3:
	s_or_saveexec_b64 s[4:5], s[12:13]
	s_load_dwordx4 s[12:15], s[0:1], 0x0
	s_xor_b64 exec, exec, s[4:5]
	s_cbranch_execz .LBB32_5
; %bb.4:
	v_cvt_f32_u32_e32 v6, s10
	s_sub_i32 s16, 0, s10
	v_rcp_iflag_f32_e32 v6, v6
	s_nop 0
	v_mul_f32_e32 v6, 0x4f7ffffe, v6
	v_cvt_u32_f32_e32 v6, v6
	v_mul_lo_u32 v7, s16, v6
	v_mul_hi_u32 v7, v6, v7
	v_add_u32_e32 v6, v6, v7
	v_mul_hi_u32 v6, v8, v6
	v_mul_lo_u32 v7, v6, s10
	v_sub_u32_e32 v7, v8, v7
	v_add_u32_e32 v9, 1, v6
	v_subrev_u32_e32 v8, s10, v7
	v_cmp_le_u32_e32 vcc, s10, v7
	s_nop 1
	v_cndmask_b32_e32 v7, v7, v8, vcc
	v_cndmask_b32_e32 v6, v6, v9, vcc
	v_add_u32_e32 v8, 1, v6
	v_cmp_le_u32_e32 vcc, s10, v7
	v_mov_b32_e32 v7, 0
	s_nop 0
	v_cndmask_b32_e32 v6, v6, v8, vcc
.LBB32_5:
	s_or_b64 exec, exec, s[4:5]
	s_load_dwordx4 s[16:19], s[0:1], 0x10
	v_lshl_add_u64 v[4:5], v[6:7], 0, v[4:5]
	v_lshl_add_u64 v[20:21], v[4:5], 0, 1
	s_mov_b64 s[0:1], 0
	v_cmp_lt_u64_e32 vcc, 3, v[20:21]
	s_waitcnt lgkmcnt(0)
	s_lshl_b64 s[4:5], s[16:17], 1
	s_add_u32 s20, s4, -2
	s_addc_u32 s21, s5, -1
	v_cmp_lt_i64_e64 s[26:27], s[20:21], 1
	v_cmp_gt_i64_e64 s[22:23], s[20:21], 0
                                        ; implicit-def: $vgpr4_vgpr5
                                        ; implicit-def: $vgpr6_vgpr7
	s_and_saveexec_b64 s[4:5], vcc
	s_xor_b64 s[24:25], exec, s[4:5]
	s_cbranch_execnz .LBB32_8
; %bb.6:
	s_andn2_saveexec_b64 s[2:3], s[24:25]
	s_cbranch_execnz .LBB32_51
.LBB32_7:
	s_or_b64 exec, exec, s[2:3]
	s_and_b64 exec, exec, s[0:1]
	s_cbranch_execnz .LBB32_52
	s_branch .LBB32_64
.LBB32_8:
	v_mad_u64_u32 v[8:9], s[0:1], s10, 3, v[2:3]
	v_mov_b32_e32 v12, v9
	s_xor_b64 s[28:29], s[26:27], -1
	v_mad_u64_u32 v[6:7], s[0:1], s10, 2, v[2:3]
	v_mad_u64_u32 v[4:5], s[0:1], s10, 1, v[2:3]
	v_mad_u64_u32 v[12:13], s[0:1], s11, 3, v[12:13]
	s_lshl_b64 s[42:43], s[10:11], 2
	s_sub_u32 s40, 0, s8
	s_mul_i32 s0, s11, 6
	s_mul_hi_u32 s1, s10, 6
	s_subb_u32 s41, 0, s9
	s_add_i32 s55, s1, s0
	s_lshl_b64 s[56:57], s[10:11], 3
	s_lshl_b64 s[52:53], s[10:11], 1
	;; [unrolled: 1-line block ×3, first 2 shown]
	s_add_u32 s0, s0, s2
	v_mov_b32_e32 v9, v12
	v_mov_b32_e32 v12, s19
	v_subrev_co_u32_e32 v24, vcc, s18, v2
	s_addc_u32 s1, s1, 0
	v_mov_b32_e32 v14, s3
	v_subb_co_u32_e32 v25, vcc, v3, v12, vcc
	s_mul_i32 s4, s1, s3
	v_mad_u64_u32 v[12:13], s[0:1], s0, v14, v[0:1]
	s_mul_i32 s1, s58, 3
	s_mul_hi_u32 s0, s58, 3
	s_add_u32 s1, s1, s2
	v_add_u32_e32 v13, s4, v13
	v_mov_b32_e32 v15, s19
	v_subrev_co_u32_e32 v28, vcc, s18, v12
	s_addc_u32 s0, s0, 0
	s_nop 0
	v_subb_co_u32_e32 v29, vcc, v13, v15, vcc
	s_mul_i32 s2, s0, s3
	v_mad_u64_u32 v[0:1], s[0:1], s1, v14, v[0:1]
	v_add_u32_e32 v1, s2, v1
	v_mov_b32_e32 v12, s19
	v_subrev_co_u32_e32 v0, vcc, s18, v0
	v_lshl_add_u32 v7, s11, 1, v7
	s_nop 0
	v_subb_co_u32_e32 v1, vcc, v1, v12, vcc
	v_add_u32_e32 v5, s11, v5
	v_subrev_co_u32_e32 v30, vcc, s18, v10
	v_and_b32_e32 v22, -4, v20
	v_mov_b32_e32 v23, v21
	v_subb_co_u32_e32 v31, vcc, v11, v12, vcc
	v_mov_b64_e32 v[10:11], v[8:9]
	s_mov_b32 s33, s20
	s_mov_b32 s62, s21
	;; [unrolled: 1-line block ×20, first 2 shown]
	s_mov_b64 s[50:51], 0
	s_mul_i32 s54, s10, 6
	v_lshl_add_u64 v[26:27], v[2:3], 1, s[14:15]
	v_mov_b32_e32 v32, 0
	v_mov_b64_e32 v[34:35], v[22:23]
	v_mov_b64_e32 v[8:9], v[6:7]
	;; [unrolled: 1-line block ×4, first 2 shown]
	s_branch .LBB32_11
.LBB32_9:                               ;   in Loop: Header=BB32_11 Depth=1
	s_or_b64 exec, exec, s[0:1]
.LBB32_10:                              ;   in Loop: Header=BB32_11 Depth=1
	v_ashrrev_i32_e32 v33, 31, v19
	v_and_b32_e32 v45, s66, v33
	v_and_b32_e32 v44, s65, v33
	v_ashrrev_i32_e32 v33, 31, v17
	v_and_b32_e32 v47, s64, v33
	v_and_b32_e32 v46, s63, v33
	;; [unrolled: 3-line block ×3, first 2 shown]
	v_ashrrev_i32_e32 v33, 31, v13
	v_lshl_add_u64 v[18:19], v[44:45], 0, v[18:19]
	v_and_b32_e32 v51, s21, v33
	v_and_b32_e32 v50, s20, v33
	v_mov_b32_e32 v33, s66
	v_sub_co_u32_e32 v44, vcc, s65, v18
	v_lshl_add_u64 v[16:17], v[46:47], 0, v[16:17]
	s_nop 0
	v_subb_co_u32_e32 v33, vcc, v33, v19, vcc
	v_mov_b32_e32 v45, s64
	v_sub_co_u32_e32 v46, vcc, s63, v16
	v_lshl_add_u64 v[14:15], v[48:49], 0, v[14:15]
	s_nop 0
	v_subb_co_u32_e32 v45, vcc, v45, v17, vcc
	;; [unrolled: 5-line block ×3, first 2 shown]
	v_mov_b32_e32 v49, s21
	v_sub_co_u32_e32 v50, vcc, s20, v12
	v_lshl_add_u64 v[34:35], v[34:35], 0, -4
	s_nop 0
	v_subb_co_u32_e32 v49, vcc, v49, v13, vcc
	v_cmp_gt_i64_e32 vcc, s[30:31], v[12:13]
	v_lshl_add_u64 v[10:11], v[10:11], 0, s[48:49]
	v_lshl_add_u64 v[8:9], v[8:9], 0, s[46:47]
	v_cndmask_b32_e32 v50, v50, v12, vcc
	v_cndmask_b32_e32 v49, v49, v13, vcc
	v_cmp_gt_i64_e32 vcc, s[34:35], v[14:15]
	v_lshl_add_u64 v[6:7], v[6:7], 0, s[44:45]
	v_lshl_add_u64 v[4:5], v[4:5], 0, s[42:43]
	v_cndmask_b32_e32 v48, v48, v14, vcc
	v_cndmask_b32_e32 v47, v47, v15, vcc
	;; [unrolled: 5-line block ×3, first 2 shown]
	v_cmp_gt_i64_e32 vcc, s[38:39], v[18:19]
	v_cndmask_b32_e64 v15, v15, 0, s[26:27]
	v_cndmask_b32_e64 v14, v14, 0, s[26:27]
	v_cndmask_b32_e32 v12, v44, v18, vcc
	v_cndmask_b32_e32 v13, v33, v19, vcc
	v_mul_lo_u32 v33, v43, s38
	v_mul_lo_u32 v44, v42, s39
	v_mad_u64_u32 v[42:43], s[0:1], v42, s38, 0
	v_add3_u32 v43, v43, v44, v33
	v_mul_lo_u32 v33, v41, s36
	v_mul_lo_u32 v44, v40, s37
	v_mad_u64_u32 v[40:41], s[0:1], v40, s36, 0
	v_add3_u32 v41, v41, v44, v33
	v_mul_lo_u32 v33, v39, s34
	v_mul_lo_u32 v44, v38, s35
	v_mad_u64_u32 v[38:39], s[0:1], v38, s34, 0
	v_add3_u32 v39, v39, v44, v33
	v_mul_lo_u32 v33, v37, s30
	v_mul_lo_u32 v44, v36, s31
	v_mad_u64_u32 v[36:37], s[0:1], v36, s30, 0
	v_add3_u32 v37, v37, v44, v33
	v_cndmask_b32_e64 v19, v49, 0, s[26:27]
	v_cndmask_b32_e64 v18, v50, 0, s[26:27]
	v_lshl_add_u64 v[36:37], v[36:37], 1, s[12:13]
	v_cndmask_b32_e64 v13, v13, 0, s[26:27]
	v_cndmask_b32_e64 v12, v12, 0, s[26:27]
	;; [unrolled: 1-line block ×4, first 2 shown]
	v_lshl_add_u64 v[38:39], v[38:39], 1, s[12:13]
	v_lshl_add_u64 v[40:41], v[40:41], 1, s[12:13]
	v_lshl_add_u64 v[42:43], v[42:43], 1, s[12:13]
	v_lshl_add_u64 v[18:19], v[18:19], 1, v[36:37]
	v_lshl_add_u64 v[16:17], v[16:17], 1, v[38:39]
	v_lshl_add_u64 v[14:15], v[14:15], 1, v[40:41]
	v_lshl_add_u64 v[12:13], v[12:13], 1, v[42:43]
	global_load_ushort v18, v[18:19], off
	s_nop 0
	global_load_ushort v19, v[16:17], off
	global_load_ushort v33, v[14:15], off
	;; [unrolled: 1-line block ×3, first 2 shown]
	v_cmp_eq_u64_e32 vcc, 0, v[34:35]
	v_lshl_add_u64 v[12:13], v[26:27], 0, s[52:53]
	v_lshl_add_u64 v[14:15], v[26:27], 0, s[42:43]
	v_lshl_add_u64 v[16:17], v[26:27], 0, s[54:55]
	v_lshl_add_u64 v[0:1], v[0:1], 0, s[42:43]
	s_or_b64 s[50:51], vcc, s[50:51]
	v_lshl_add_u64 v[30:31], v[30:31], 0, s[42:43]
	s_waitcnt vmcnt(3)
	global_store_short v[26:27], v18, off
	s_waitcnt vmcnt(3)
	global_store_short v[12:13], v19, off
	;; [unrolled: 2-line block ×4, first 2 shown]
	v_lshl_add_u64 v[26:27], v[26:27], 0, s[56:57]
	s_andn2_b64 exec, exec, s[50:51]
	s_cbranch_execz .LBB32_50
.LBB32_11:                              ; =>This Inner Loop Header: Depth=1
	v_or_b32_e32 v33, s9, v5
	v_cmp_ne_u64_e32 vcc, 0, v[32:33]
                                        ; implicit-def: $vgpr36_vgpr37
	s_and_saveexec_b64 s[0:1], vcc
	s_xor_b64 s[2:3], exec, s[0:1]
	s_cbranch_execz .LBB32_13
; %bb.12:                               ;   in Loop: Header=BB32_11 Depth=1
	s_ashr_i32 s4, s9, 31
	s_add_u32 s0, s8, s4
	s_mov_b32 s5, s4
	s_addc_u32 s1, s9, s4
	s_xor_b64 s[58:59], s[0:1], s[4:5]
	v_cvt_f32_u32_e32 v12, s58
	v_cvt_f32_u32_e32 v13, s59
	s_sub_u32 s5, 0, s58
	s_subb_u32 s60, 0, s59
	v_mov_b32_e32 v17, v32
	v_fmac_f32_e32 v12, 0x4f800000, v13
	v_rcp_f32_e32 v12, v12
	s_nop 0
	v_mul_f32_e32 v12, 0x5f7ffffc, v12
	v_mul_f32_e32 v13, 0x2f800000, v12
	v_trunc_f32_e32 v13, v13
	v_fmac_f32_e32 v12, 0xcf800000, v13
	v_cvt_u32_f32_e32 v13, v13
	v_cvt_u32_f32_e32 v12, v12
	v_readfirstlane_b32 s61, v13
	v_readfirstlane_b32 s0, v12
	s_mul_i32 s1, s5, s61
	s_mul_hi_u32 s68, s5, s0
	s_mul_i32 s67, s60, s0
	s_add_i32 s1, s68, s1
	s_add_i32 s1, s1, s67
	s_mul_i32 s69, s5, s0
	s_mul_i32 s68, s0, s1
	s_mul_hi_u32 s70, s0, s69
	s_mul_hi_u32 s67, s0, s1
	s_add_u32 s68, s70, s68
	s_addc_u32 s67, 0, s67
	s_mul_hi_u32 s71, s61, s69
	s_mul_i32 s69, s61, s69
	s_add_u32 s68, s68, s69
	s_mul_hi_u32 s70, s61, s1
	s_addc_u32 s67, s67, s71
	s_addc_u32 s68, s70, 0
	s_mul_i32 s1, s61, s1
	s_add_u32 s1, s67, s1
	s_addc_u32 s67, 0, s68
	s_add_u32 s68, s0, s1
	s_cselect_b64 s[0:1], -1, 0
	s_cmp_lg_u64 s[0:1], 0
	s_addc_u32 s61, s61, s67
	s_mul_i32 s0, s5, s61
	s_mul_hi_u32 s1, s5, s68
	s_add_i32 s0, s1, s0
	s_mul_i32 s60, s60, s68
	s_add_i32 s0, s0, s60
	s_mul_i32 s5, s5, s68
	s_mul_hi_u32 s60, s61, s5
	s_mul_i32 s67, s61, s5
	s_mul_i32 s70, s68, s0
	s_mul_hi_u32 s5, s68, s5
	s_mul_hi_u32 s69, s68, s0
	s_add_u32 s5, s5, s70
	s_addc_u32 s69, 0, s69
	s_add_u32 s5, s5, s67
	s_mul_hi_u32 s1, s61, s0
	s_addc_u32 s5, s69, s60
	s_addc_u32 s1, s1, 0
	s_mul_i32 s0, s61, s0
	s_add_u32 s0, s5, s0
	s_addc_u32 s5, 0, s1
	s_add_u32 s60, s68, s0
	v_ashrrev_i32_e32 v12, 31, v5
	s_cselect_b64 s[0:1], -1, 0
	v_mov_b32_e32 v13, v12
	s_cmp_lg_u64 s[0:1], 0
	v_lshl_add_u64 v[14:15], v[4:5], 0, v[12:13]
	s_addc_u32 s5, s61, s5
	v_xor_b32_e32 v33, v14, v12
	v_xor_b32_e32 v13, v15, v12
	v_mad_u64_u32 v[14:15], s[0:1], v33, s5, 0
	v_mul_hi_u32 v16, v33, s60
	v_lshl_add_u64 v[14:15], v[16:17], 0, v[14:15]
	v_mad_u64_u32 v[18:19], s[0:1], v13, s60, 0
	v_add_co_u32_e32 v14, vcc, v14, v18
	v_mad_u64_u32 v[16:17], s[0:1], v13, s5, 0
	s_nop 0
	v_addc_co_u32_e32 v14, vcc, v15, v19, vcc
	v_mov_b32_e32 v15, v32
	s_nop 0
	v_addc_co_u32_e32 v17, vcc, 0, v17, vcc
	v_lshl_add_u64 v[14:15], v[14:15], 0, v[16:17]
	v_mul_lo_u32 v18, s59, v14
	v_mul_lo_u32 v19, s58, v15
	v_mad_u64_u32 v[16:17], s[0:1], s58, v14, 0
	v_add3_u32 v36, v17, v19, v18
	v_sub_u32_e32 v17, v13, v36
	v_mov_b32_e32 v18, s59
	v_sub_co_u32_e32 v33, vcc, v33, v16
	v_xor_b32_e32 v12, s4, v12
	s_nop 0
	v_subb_co_u32_e64 v16, s[0:1], v17, v18, vcc
	v_subrev_co_u32_e64 v17, s[0:1], s58, v33
	v_subb_co_u32_e32 v13, vcc, v13, v36, vcc
	s_nop 0
	v_subbrev_co_u32_e64 v16, s[0:1], 0, v16, s[0:1]
	v_cmp_le_u32_e64 s[0:1], s59, v16
	v_cmp_le_u32_e32 vcc, s59, v13
	s_nop 0
	v_cndmask_b32_e64 v18, 0, -1, s[0:1]
	v_cmp_le_u32_e64 s[0:1], s58, v17
	s_nop 1
	v_cndmask_b32_e64 v17, 0, -1, s[0:1]
	v_cmp_eq_u32_e64 s[0:1], s59, v16
	s_nop 1
	v_cndmask_b32_e64 v37, v18, v17, s[0:1]
	v_lshl_add_u64 v[16:17], v[14:15], 0, 2
	v_lshl_add_u64 v[18:19], v[14:15], 0, 1
	v_cmp_ne_u32_e64 s[0:1], 0, v37
	s_nop 1
	v_cndmask_b32_e64 v17, v19, v17, s[0:1]
	v_cndmask_b32_e64 v19, 0, -1, vcc
	v_cmp_le_u32_e32 vcc, s58, v33
	s_nop 1
	v_cndmask_b32_e64 v33, 0, -1, vcc
	v_cmp_eq_u32_e32 vcc, s59, v13
	s_nop 1
	v_cndmask_b32_e32 v13, v19, v33, vcc
	v_cmp_ne_u32_e32 vcc, 0, v13
	s_nop 1
	v_cndmask_b32_e32 v13, v15, v17, vcc
	v_cndmask_b32_e64 v15, v18, v16, s[0:1]
	v_cndmask_b32_e32 v14, v14, v15, vcc
	v_xor_b32_e32 v14, v14, v12
	v_xor_b32_e32 v13, v13, v12
	v_sub_co_u32_e32 v36, vcc, v14, v12
	s_nop 1
	v_subb_co_u32_e32 v37, vcc, v13, v12, vcc
.LBB32_13:                              ;   in Loop: Header=BB32_11 Depth=1
	s_or_saveexec_b64 s[0:1], s[2:3]
	v_cvt_f32_u32_e32 v12, s8
	v_rcp_iflag_f32_e32 v12, v12
	s_xor_b64 exec, exec, s[0:1]
	s_cbranch_execz .LBB32_15
; %bb.14:                               ;   in Loop: Header=BB32_11 Depth=1
	v_mul_f32_e32 v13, 0x4f7ffffe, v12
	v_cvt_u32_f32_e32 v13, v13
	s_sub_i32 s2, 0, s8
	v_mov_b32_e32 v37, v32
	v_mul_lo_u32 v14, s2, v13
	v_mul_hi_u32 v14, v13, v14
	v_add_u32_e32 v13, v13, v14
	v_mul_hi_u32 v13, v4, v13
	v_mul_lo_u32 v14, v13, s8
	v_sub_u32_e32 v14, v4, v14
	v_add_u32_e32 v15, 1, v13
	v_subrev_u32_e32 v16, s8, v14
	v_cmp_le_u32_e32 vcc, s8, v14
	s_nop 1
	v_cndmask_b32_e32 v14, v14, v16, vcc
	v_cndmask_b32_e32 v13, v13, v15, vcc
	v_add_u32_e32 v15, 1, v13
	v_cmp_le_u32_e32 vcc, s8, v14
	s_nop 1
	v_cndmask_b32_e32 v36, v13, v15, vcc
.LBB32_15:                              ;   in Loop: Header=BB32_11 Depth=1
	s_or_b64 exec, exec, s[0:1]
	v_or_b32_e32 v33, s9, v7
	v_cmp_ne_u64_e32 vcc, 0, v[32:33]
                                        ; implicit-def: $vgpr38_vgpr39
	s_and_saveexec_b64 s[0:1], vcc
	s_xor_b64 s[2:3], exec, s[0:1]
	s_cbranch_execz .LBB32_17
; %bb.16:                               ;   in Loop: Header=BB32_11 Depth=1
	s_ashr_i32 s4, s9, 31
	s_add_u32 s0, s8, s4
	s_mov_b32 s5, s4
	s_addc_u32 s1, s9, s4
	s_xor_b64 s[58:59], s[0:1], s[4:5]
	v_cvt_f32_u32_e32 v13, s58
	v_cvt_f32_u32_e32 v14, s59
	s_sub_u32 s5, 0, s58
	s_subb_u32 s60, 0, s59
	v_mov_b32_e32 v19, v32
	v_fmac_f32_e32 v13, 0x4f800000, v14
	v_rcp_f32_e32 v13, v13
	s_nop 0
	v_mul_f32_e32 v13, 0x5f7ffffc, v13
	v_mul_f32_e32 v14, 0x2f800000, v13
	v_trunc_f32_e32 v14, v14
	v_fmac_f32_e32 v13, 0xcf800000, v14
	v_cvt_u32_f32_e32 v14, v14
	v_cvt_u32_f32_e32 v13, v13
	v_readfirstlane_b32 s61, v14
	v_readfirstlane_b32 s0, v13
	s_mul_i32 s1, s5, s61
	s_mul_hi_u32 s68, s5, s0
	s_mul_i32 s67, s60, s0
	s_add_i32 s1, s68, s1
	s_add_i32 s1, s1, s67
	s_mul_i32 s69, s5, s0
	s_mul_i32 s68, s0, s1
	s_mul_hi_u32 s70, s0, s69
	s_mul_hi_u32 s67, s0, s1
	s_add_u32 s68, s70, s68
	s_addc_u32 s67, 0, s67
	s_mul_hi_u32 s71, s61, s69
	s_mul_i32 s69, s61, s69
	s_add_u32 s68, s68, s69
	s_mul_hi_u32 s70, s61, s1
	s_addc_u32 s67, s67, s71
	s_addc_u32 s68, s70, 0
	s_mul_i32 s1, s61, s1
	s_add_u32 s1, s67, s1
	s_addc_u32 s67, 0, s68
	s_add_u32 s68, s0, s1
	s_cselect_b64 s[0:1], -1, 0
	s_cmp_lg_u64 s[0:1], 0
	s_addc_u32 s61, s61, s67
	s_mul_i32 s0, s5, s61
	s_mul_hi_u32 s1, s5, s68
	s_add_i32 s0, s1, s0
	s_mul_i32 s60, s60, s68
	s_add_i32 s0, s0, s60
	s_mul_i32 s5, s5, s68
	s_mul_hi_u32 s60, s61, s5
	s_mul_i32 s67, s61, s5
	s_mul_i32 s70, s68, s0
	s_mul_hi_u32 s5, s68, s5
	s_mul_hi_u32 s69, s68, s0
	s_add_u32 s5, s5, s70
	s_addc_u32 s69, 0, s69
	s_add_u32 s5, s5, s67
	s_mul_hi_u32 s1, s61, s0
	s_addc_u32 s5, s69, s60
	s_addc_u32 s1, s1, 0
	s_mul_i32 s0, s61, s0
	s_add_u32 s0, s5, s0
	s_addc_u32 s5, 0, s1
	s_add_u32 s60, s68, s0
	v_ashrrev_i32_e32 v14, 31, v7
	s_cselect_b64 s[0:1], -1, 0
	v_mov_b32_e32 v15, v14
	s_cmp_lg_u64 s[0:1], 0
	v_lshl_add_u64 v[16:17], v[6:7], 0, v[14:15]
	s_addc_u32 s5, s61, s5
	v_xor_b32_e32 v15, v16, v14
	v_xor_b32_e32 v13, v17, v14
	v_mad_u64_u32 v[16:17], s[0:1], v15, s5, 0
	v_mul_hi_u32 v18, v15, s60
	v_lshl_add_u64 v[16:17], v[18:19], 0, v[16:17]
	v_mad_u64_u32 v[38:39], s[0:1], v13, s60, 0
	v_add_co_u32_e32 v16, vcc, v16, v38
	v_mad_u64_u32 v[18:19], s[0:1], v13, s5, 0
	s_nop 0
	v_addc_co_u32_e32 v16, vcc, v17, v39, vcc
	v_mov_b32_e32 v17, v32
	s_nop 0
	v_addc_co_u32_e32 v19, vcc, 0, v19, vcc
	v_lshl_add_u64 v[16:17], v[16:17], 0, v[18:19]
	v_mul_lo_u32 v33, s59, v16
	v_mul_lo_u32 v38, s58, v17
	v_mad_u64_u32 v[18:19], s[0:1], s58, v16, 0
	v_add3_u32 v33, v19, v38, v33
	v_sub_u32_e32 v19, v13, v33
	v_mov_b32_e32 v38, s59
	v_sub_co_u32_e32 v15, vcc, v15, v18
	v_xor_b32_e32 v14, s4, v14
	s_nop 0
	v_subb_co_u32_e64 v18, s[0:1], v19, v38, vcc
	v_subrev_co_u32_e64 v19, s[0:1], s58, v15
	v_subb_co_u32_e32 v13, vcc, v13, v33, vcc
	s_nop 0
	v_subbrev_co_u32_e64 v18, s[0:1], 0, v18, s[0:1]
	v_cmp_le_u32_e64 s[0:1], s59, v18
	v_cmp_le_u32_e32 vcc, s59, v13
	s_nop 0
	v_cndmask_b32_e64 v38, 0, -1, s[0:1]
	v_cmp_le_u32_e64 s[0:1], s58, v19
	v_cndmask_b32_e64 v33, 0, -1, vcc
	v_cmp_le_u32_e32 vcc, s58, v15
	v_cndmask_b32_e64 v19, 0, -1, s[0:1]
	v_cmp_eq_u32_e64 s[0:1], s59, v18
	v_cndmask_b32_e64 v15, 0, -1, vcc
	v_cmp_eq_u32_e32 vcc, s59, v13
	v_cndmask_b32_e64 v40, v38, v19, s[0:1]
	v_lshl_add_u64 v[18:19], v[16:17], 0, 2
	v_lshl_add_u64 v[38:39], v[16:17], 0, 1
	v_cmp_ne_u32_e64 s[0:1], 0, v40
	v_cndmask_b32_e32 v13, v33, v15, vcc
	v_cmp_ne_u32_e32 vcc, 0, v13
	v_cndmask_b32_e64 v15, v38, v18, s[0:1]
	v_cndmask_b32_e64 v19, v39, v19, s[0:1]
	v_cndmask_b32_e32 v15, v16, v15, vcc
	v_cndmask_b32_e32 v13, v17, v19, vcc
	v_xor_b32_e32 v15, v15, v14
	v_xor_b32_e32 v13, v13, v14
	v_sub_co_u32_e32 v38, vcc, v15, v14
	s_nop 1
	v_subb_co_u32_e32 v39, vcc, v13, v14, vcc
.LBB32_17:                              ;   in Loop: Header=BB32_11 Depth=1
	s_andn2_saveexec_b64 s[0:1], s[2:3]
	s_cbranch_execz .LBB32_19
; %bb.18:                               ;   in Loop: Header=BB32_11 Depth=1
	v_mul_f32_e32 v13, 0x4f7ffffe, v12
	v_cvt_u32_f32_e32 v13, v13
	s_sub_i32 s2, 0, s8
	v_mov_b32_e32 v39, v32
	v_mul_lo_u32 v14, s2, v13
	v_mul_hi_u32 v14, v13, v14
	v_add_u32_e32 v13, v13, v14
	v_mul_hi_u32 v13, v6, v13
	v_mul_lo_u32 v14, v13, s8
	v_sub_u32_e32 v14, v6, v14
	v_add_u32_e32 v15, 1, v13
	v_subrev_u32_e32 v16, s8, v14
	v_cmp_le_u32_e32 vcc, s8, v14
	s_nop 1
	v_cndmask_b32_e32 v14, v14, v16, vcc
	v_cndmask_b32_e32 v13, v13, v15, vcc
	v_add_u32_e32 v15, 1, v13
	v_cmp_le_u32_e32 vcc, s8, v14
	s_nop 1
	v_cndmask_b32_e32 v38, v13, v15, vcc
.LBB32_19:                              ;   in Loop: Header=BB32_11 Depth=1
	s_or_b64 exec, exec, s[0:1]
	v_or_b32_e32 v33, s9, v9
	v_cmp_ne_u64_e32 vcc, 0, v[32:33]
                                        ; implicit-def: $vgpr40_vgpr41
	s_and_saveexec_b64 s[0:1], vcc
	s_xor_b64 s[2:3], exec, s[0:1]
	s_cbranch_execz .LBB32_21
; %bb.20:                               ;   in Loop: Header=BB32_11 Depth=1
	s_ashr_i32 s4, s9, 31
	s_add_u32 s0, s8, s4
	s_mov_b32 s5, s4
	s_addc_u32 s1, s9, s4
	s_xor_b64 s[58:59], s[0:1], s[4:5]
	v_cvt_f32_u32_e32 v13, s58
	v_cvt_f32_u32_e32 v14, s59
	s_sub_u32 s5, 0, s58
	s_subb_u32 s60, 0, s59
	v_mov_b32_e32 v19, v32
	v_fmac_f32_e32 v13, 0x4f800000, v14
	v_rcp_f32_e32 v13, v13
	s_nop 0
	v_mul_f32_e32 v13, 0x5f7ffffc, v13
	v_mul_f32_e32 v14, 0x2f800000, v13
	v_trunc_f32_e32 v14, v14
	v_fmac_f32_e32 v13, 0xcf800000, v14
	v_cvt_u32_f32_e32 v14, v14
	v_cvt_u32_f32_e32 v13, v13
	v_readfirstlane_b32 s61, v14
	v_readfirstlane_b32 s0, v13
	s_mul_i32 s1, s5, s61
	s_mul_hi_u32 s68, s5, s0
	s_mul_i32 s67, s60, s0
	s_add_i32 s1, s68, s1
	s_add_i32 s1, s1, s67
	s_mul_i32 s69, s5, s0
	s_mul_i32 s68, s0, s1
	s_mul_hi_u32 s70, s0, s69
	s_mul_hi_u32 s67, s0, s1
	s_add_u32 s68, s70, s68
	s_addc_u32 s67, 0, s67
	s_mul_hi_u32 s71, s61, s69
	s_mul_i32 s69, s61, s69
	s_add_u32 s68, s68, s69
	s_mul_hi_u32 s70, s61, s1
	s_addc_u32 s67, s67, s71
	s_addc_u32 s68, s70, 0
	s_mul_i32 s1, s61, s1
	s_add_u32 s1, s67, s1
	s_addc_u32 s67, 0, s68
	s_add_u32 s68, s0, s1
	s_cselect_b64 s[0:1], -1, 0
	s_cmp_lg_u64 s[0:1], 0
	s_addc_u32 s61, s61, s67
	s_mul_i32 s0, s5, s61
	s_mul_hi_u32 s1, s5, s68
	s_add_i32 s0, s1, s0
	s_mul_i32 s60, s60, s68
	s_add_i32 s0, s0, s60
	s_mul_i32 s5, s5, s68
	s_mul_hi_u32 s60, s61, s5
	s_mul_i32 s67, s61, s5
	s_mul_i32 s70, s68, s0
	s_mul_hi_u32 s5, s68, s5
	s_mul_hi_u32 s69, s68, s0
	s_add_u32 s5, s5, s70
	s_addc_u32 s69, 0, s69
	s_add_u32 s5, s5, s67
	s_mul_hi_u32 s1, s61, s0
	s_addc_u32 s5, s69, s60
	s_addc_u32 s1, s1, 0
	s_mul_i32 s0, s61, s0
	s_add_u32 s0, s5, s0
	s_addc_u32 s5, 0, s1
	s_add_u32 s60, s68, s0
	v_ashrrev_i32_e32 v14, 31, v9
	s_cselect_b64 s[0:1], -1, 0
	v_mov_b32_e32 v15, v14
	s_cmp_lg_u64 s[0:1], 0
	v_lshl_add_u64 v[16:17], v[8:9], 0, v[14:15]
	s_addc_u32 s5, s61, s5
	v_xor_b32_e32 v15, v16, v14
	v_xor_b32_e32 v13, v17, v14
	v_mad_u64_u32 v[16:17], s[0:1], v15, s5, 0
	v_mul_hi_u32 v18, v15, s60
	v_lshl_add_u64 v[16:17], v[18:19], 0, v[16:17]
	v_mad_u64_u32 v[40:41], s[0:1], v13, s60, 0
	v_add_co_u32_e32 v16, vcc, v16, v40
	v_mad_u64_u32 v[18:19], s[0:1], v13, s5, 0
	s_nop 0
	v_addc_co_u32_e32 v16, vcc, v17, v41, vcc
	v_mov_b32_e32 v17, v32
	s_nop 0
	v_addc_co_u32_e32 v19, vcc, 0, v19, vcc
	v_lshl_add_u64 v[16:17], v[16:17], 0, v[18:19]
	v_mul_lo_u32 v33, s59, v16
	v_mul_lo_u32 v40, s58, v17
	v_mad_u64_u32 v[18:19], s[0:1], s58, v16, 0
	v_add3_u32 v33, v19, v40, v33
	v_sub_u32_e32 v19, v13, v33
	v_mov_b32_e32 v40, s59
	v_sub_co_u32_e32 v15, vcc, v15, v18
	v_xor_b32_e32 v14, s4, v14
	s_nop 0
	v_subb_co_u32_e64 v18, s[0:1], v19, v40, vcc
	v_subrev_co_u32_e64 v19, s[0:1], s58, v15
	v_subb_co_u32_e32 v13, vcc, v13, v33, vcc
	s_nop 0
	v_subbrev_co_u32_e64 v18, s[0:1], 0, v18, s[0:1]
	v_cmp_le_u32_e64 s[0:1], s59, v18
	v_cmp_le_u32_e32 vcc, s59, v13
	s_nop 0
	v_cndmask_b32_e64 v40, 0, -1, s[0:1]
	v_cmp_le_u32_e64 s[0:1], s58, v19
	v_cndmask_b32_e64 v33, 0, -1, vcc
	v_cmp_le_u32_e32 vcc, s58, v15
	v_cndmask_b32_e64 v19, 0, -1, s[0:1]
	v_cmp_eq_u32_e64 s[0:1], s59, v18
	v_cndmask_b32_e64 v15, 0, -1, vcc
	v_cmp_eq_u32_e32 vcc, s59, v13
	v_cndmask_b32_e64 v42, v40, v19, s[0:1]
	v_lshl_add_u64 v[18:19], v[16:17], 0, 2
	v_lshl_add_u64 v[40:41], v[16:17], 0, 1
	v_cmp_ne_u32_e64 s[0:1], 0, v42
	v_cndmask_b32_e32 v13, v33, v15, vcc
	v_cmp_ne_u32_e32 vcc, 0, v13
	v_cndmask_b32_e64 v15, v40, v18, s[0:1]
	v_cndmask_b32_e64 v19, v41, v19, s[0:1]
	v_cndmask_b32_e32 v15, v16, v15, vcc
	v_cndmask_b32_e32 v13, v17, v19, vcc
	v_xor_b32_e32 v15, v15, v14
	v_xor_b32_e32 v13, v13, v14
	v_sub_co_u32_e32 v40, vcc, v15, v14
	s_nop 1
	v_subb_co_u32_e32 v41, vcc, v13, v14, vcc
.LBB32_21:                              ;   in Loop: Header=BB32_11 Depth=1
	s_andn2_saveexec_b64 s[0:1], s[2:3]
	s_cbranch_execz .LBB32_23
; %bb.22:                               ;   in Loop: Header=BB32_11 Depth=1
	v_mul_f32_e32 v13, 0x4f7ffffe, v12
	v_cvt_u32_f32_e32 v13, v13
	s_sub_i32 s2, 0, s8
	v_mov_b32_e32 v41, v32
	v_mul_lo_u32 v14, s2, v13
	v_mul_hi_u32 v14, v13, v14
	v_add_u32_e32 v13, v13, v14
	v_mul_hi_u32 v13, v8, v13
	v_mul_lo_u32 v14, v13, s8
	v_sub_u32_e32 v14, v8, v14
	v_add_u32_e32 v15, 1, v13
	v_subrev_u32_e32 v16, s8, v14
	v_cmp_le_u32_e32 vcc, s8, v14
	s_nop 1
	v_cndmask_b32_e32 v14, v14, v16, vcc
	v_cndmask_b32_e32 v13, v13, v15, vcc
	v_add_u32_e32 v15, 1, v13
	v_cmp_le_u32_e32 vcc, s8, v14
	s_nop 1
	v_cndmask_b32_e32 v40, v13, v15, vcc
.LBB32_23:                              ;   in Loop: Header=BB32_11 Depth=1
	s_or_b64 exec, exec, s[0:1]
	v_or_b32_e32 v33, s9, v11
	v_cmp_ne_u64_e32 vcc, 0, v[32:33]
                                        ; implicit-def: $vgpr42_vgpr43
	s_and_saveexec_b64 s[0:1], vcc
	s_xor_b64 s[2:3], exec, s[0:1]
	s_cbranch_execz .LBB32_25
; %bb.24:                               ;   in Loop: Header=BB32_11 Depth=1
	s_ashr_i32 s4, s9, 31
	s_add_u32 s0, s8, s4
	s_mov_b32 s5, s4
	s_addc_u32 s1, s9, s4
	s_xor_b64 s[58:59], s[0:1], s[4:5]
	v_cvt_f32_u32_e32 v12, s58
	v_cvt_f32_u32_e32 v13, s59
	s_sub_u32 s5, 0, s58
	s_subb_u32 s60, 0, s59
	v_mov_b32_e32 v17, v32
	v_fmac_f32_e32 v12, 0x4f800000, v13
	v_rcp_f32_e32 v12, v12
	s_nop 0
	v_mul_f32_e32 v12, 0x5f7ffffc, v12
	v_mul_f32_e32 v13, 0x2f800000, v12
	v_trunc_f32_e32 v13, v13
	v_fmac_f32_e32 v12, 0xcf800000, v13
	v_cvt_u32_f32_e32 v13, v13
	v_cvt_u32_f32_e32 v12, v12
	v_readfirstlane_b32 s61, v13
	v_readfirstlane_b32 s0, v12
	s_mul_i32 s1, s5, s61
	s_mul_hi_u32 s68, s5, s0
	s_mul_i32 s67, s60, s0
	s_add_i32 s1, s68, s1
	s_add_i32 s1, s1, s67
	s_mul_i32 s69, s5, s0
	s_mul_i32 s68, s0, s1
	s_mul_hi_u32 s70, s0, s69
	s_mul_hi_u32 s67, s0, s1
	s_add_u32 s68, s70, s68
	s_addc_u32 s67, 0, s67
	s_mul_hi_u32 s71, s61, s69
	s_mul_i32 s69, s61, s69
	s_add_u32 s68, s68, s69
	s_mul_hi_u32 s70, s61, s1
	s_addc_u32 s67, s67, s71
	s_addc_u32 s68, s70, 0
	s_mul_i32 s1, s61, s1
	s_add_u32 s1, s67, s1
	s_addc_u32 s67, 0, s68
	s_add_u32 s68, s0, s1
	s_cselect_b64 s[0:1], -1, 0
	s_cmp_lg_u64 s[0:1], 0
	s_addc_u32 s61, s61, s67
	s_mul_i32 s0, s5, s61
	s_mul_hi_u32 s1, s5, s68
	s_add_i32 s0, s1, s0
	s_mul_i32 s60, s60, s68
	s_add_i32 s0, s0, s60
	s_mul_i32 s5, s5, s68
	s_mul_hi_u32 s60, s61, s5
	s_mul_i32 s67, s61, s5
	s_mul_i32 s70, s68, s0
	s_mul_hi_u32 s5, s68, s5
	s_mul_hi_u32 s69, s68, s0
	s_add_u32 s5, s5, s70
	s_addc_u32 s69, 0, s69
	s_add_u32 s5, s5, s67
	s_mul_hi_u32 s1, s61, s0
	s_addc_u32 s5, s69, s60
	s_addc_u32 s1, s1, 0
	s_mul_i32 s0, s61, s0
	s_add_u32 s0, s5, s0
	s_addc_u32 s5, 0, s1
	s_add_u32 s60, s68, s0
	v_ashrrev_i32_e32 v12, 31, v11
	s_cselect_b64 s[0:1], -1, 0
	v_mov_b32_e32 v13, v12
	s_cmp_lg_u64 s[0:1], 0
	v_lshl_add_u64 v[14:15], v[10:11], 0, v[12:13]
	s_addc_u32 s5, s61, s5
	v_xor_b32_e32 v33, v14, v12
	v_xor_b32_e32 v13, v15, v12
	v_mad_u64_u32 v[14:15], s[0:1], v33, s5, 0
	v_mul_hi_u32 v16, v33, s60
	v_lshl_add_u64 v[14:15], v[16:17], 0, v[14:15]
	v_mad_u64_u32 v[18:19], s[0:1], v13, s60, 0
	v_add_co_u32_e32 v14, vcc, v14, v18
	v_mad_u64_u32 v[16:17], s[0:1], v13, s5, 0
	s_nop 0
	v_addc_co_u32_e32 v14, vcc, v15, v19, vcc
	v_mov_b32_e32 v15, v32
	s_nop 0
	v_addc_co_u32_e32 v17, vcc, 0, v17, vcc
	v_lshl_add_u64 v[14:15], v[14:15], 0, v[16:17]
	v_mul_lo_u32 v18, s59, v14
	v_mul_lo_u32 v19, s58, v15
	v_mad_u64_u32 v[16:17], s[0:1], s58, v14, 0
	v_add3_u32 v42, v17, v19, v18
	v_sub_u32_e32 v17, v13, v42
	v_mov_b32_e32 v18, s59
	v_sub_co_u32_e32 v33, vcc, v33, v16
	v_xor_b32_e32 v12, s4, v12
	s_nop 0
	v_subb_co_u32_e64 v16, s[0:1], v17, v18, vcc
	v_subrev_co_u32_e64 v17, s[0:1], s58, v33
	v_subb_co_u32_e32 v13, vcc, v13, v42, vcc
	s_nop 0
	v_subbrev_co_u32_e64 v16, s[0:1], 0, v16, s[0:1]
	v_cmp_le_u32_e64 s[0:1], s59, v16
	v_cmp_le_u32_e32 vcc, s59, v13
	s_nop 0
	v_cndmask_b32_e64 v18, 0, -1, s[0:1]
	v_cmp_le_u32_e64 s[0:1], s58, v17
	s_nop 1
	v_cndmask_b32_e64 v17, 0, -1, s[0:1]
	v_cmp_eq_u32_e64 s[0:1], s59, v16
	s_nop 1
	v_cndmask_b32_e64 v43, v18, v17, s[0:1]
	v_lshl_add_u64 v[16:17], v[14:15], 0, 2
	v_lshl_add_u64 v[18:19], v[14:15], 0, 1
	v_cmp_ne_u32_e64 s[0:1], 0, v43
	s_nop 1
	v_cndmask_b32_e64 v17, v19, v17, s[0:1]
	v_cndmask_b32_e64 v19, 0, -1, vcc
	v_cmp_le_u32_e32 vcc, s58, v33
	s_nop 1
	v_cndmask_b32_e64 v33, 0, -1, vcc
	v_cmp_eq_u32_e32 vcc, s59, v13
	s_nop 1
	v_cndmask_b32_e32 v13, v19, v33, vcc
	v_cmp_ne_u32_e32 vcc, 0, v13
	s_nop 1
	v_cndmask_b32_e32 v13, v15, v17, vcc
	v_cndmask_b32_e64 v15, v18, v16, s[0:1]
	v_cndmask_b32_e32 v14, v14, v15, vcc
	v_xor_b32_e32 v14, v14, v12
	v_xor_b32_e32 v13, v13, v12
	v_sub_co_u32_e32 v42, vcc, v14, v12
	s_nop 1
	v_subb_co_u32_e32 v43, vcc, v13, v12, vcc
                                        ; implicit-def: $vgpr12
.LBB32_25:                              ;   in Loop: Header=BB32_11 Depth=1
	s_andn2_saveexec_b64 s[0:1], s[2:3]
	s_cbranch_execz .LBB32_27
; %bb.26:                               ;   in Loop: Header=BB32_11 Depth=1
	v_mul_f32_e32 v12, 0x4f7ffffe, v12
	v_cvt_u32_f32_e32 v12, v12
	s_sub_i32 s2, 0, s8
	v_mov_b32_e32 v43, v32
	v_mul_lo_u32 v13, s2, v12
	v_mul_hi_u32 v13, v12, v13
	v_add_u32_e32 v12, v12, v13
	v_mul_hi_u32 v12, v10, v12
	v_mul_lo_u32 v13, v12, s8
	v_sub_u32_e32 v13, v10, v13
	v_add_u32_e32 v14, 1, v12
	v_subrev_u32_e32 v15, s8, v13
	v_cmp_le_u32_e32 vcc, s8, v13
	s_nop 1
	v_cndmask_b32_e32 v13, v13, v15, vcc
	v_cndmask_b32_e32 v12, v12, v14, vcc
	v_add_u32_e32 v14, 1, v12
	v_cmp_le_u32_e32 vcc, s8, v13
	s_nop 1
	v_cndmask_b32_e32 v42, v12, v14, vcc
.LBB32_27:                              ;   in Loop: Header=BB32_11 Depth=1
	s_or_b64 exec, exec, s[0:1]
	v_cndmask_b32_e64 v12, 0, 1, s[28:29]
	v_cmp_ne_u32_e64 s[0:1], 1, v12
	s_andn2_b64 vcc, exec, s[28:29]
                                        ; implicit-def: $vgpr12_vgpr13_vgpr14_vgpr15_vgpr16_vgpr17_vgpr18_vgpr19
	s_cbranch_vccz .LBB32_31
; %bb.28:                               ;   in Loop: Header=BB32_11 Depth=1
	s_and_b64 vcc, exec, s[0:1]
	s_cbranch_vccz .LBB32_36
.LBB32_29:                              ;   in Loop: Header=BB32_11 Depth=1
	s_and_b64 vcc, exec, s[0:1]
	s_cbranch_vccz .LBB32_41
.LBB32_30:                              ;   in Loop: Header=BB32_11 Depth=1
	s_and_b64 vcc, exec, s[0:1]
	s_cbranch_vccnz .LBB32_10
	s_branch .LBB32_46
.LBB32_31:                              ;   in Loop: Header=BB32_11 Depth=1
	v_mad_u64_u32 v[14:15], s[2:3], s40, v36, v[24:25]
	v_mul_lo_u32 v12, s40, v37
	v_mul_lo_u32 v13, s41, v36
	v_add3_u32 v15, v13, v15, v12
	v_or_b32_e32 v33, s21, v15
	v_cmp_ne_u64_e32 vcc, 0, v[32:33]
                                        ; implicit-def: $vgpr12_vgpr13
	s_and_saveexec_b64 s[2:3], vcc
	s_xor_b64 s[58:59], exec, s[2:3]
	s_cbranch_execz .LBB32_33
; %bb.32:                               ;   in Loop: Header=BB32_11 Depth=1
	s_ashr_i32 s2, s21, 31
	s_add_u32 s4, s20, s2
	s_mov_b32 s3, s2
	s_addc_u32 s5, s21, s2
	s_xor_b64 s[60:61], s[4:5], s[2:3]
	v_cvt_f32_u32_e32 v12, s60
	v_cvt_f32_u32_e32 v13, s61
	s_sub_u32 s4, 0, s60
	s_subb_u32 s5, 0, s61
	v_ashrrev_i32_e32 v16, 31, v15
	v_fmac_f32_e32 v12, 0x4f800000, v13
	v_rcp_f32_e32 v12, v12
	v_mov_b32_e32 v17, v16
	v_mul_f32_e32 v12, 0x5f7ffffc, v12
	v_mul_f32_e32 v13, 0x2f800000, v12
	v_trunc_f32_e32 v13, v13
	v_fmac_f32_e32 v12, 0xcf800000, v13
	v_cvt_u32_f32_e32 v13, v13
	v_cvt_u32_f32_e32 v12, v12
	v_readfirstlane_b32 s67, v13
	v_readfirstlane_b32 s2, v12
	s_mul_i32 s3, s4, s67
	s_mul_hi_u32 s69, s4, s2
	s_mul_i32 s68, s5, s2
	s_add_i32 s3, s69, s3
	s_add_i32 s3, s3, s68
	s_mul_i32 s70, s4, s2
	s_mul_i32 s69, s2, s3
	s_mul_hi_u32 s71, s2, s70
	s_mul_hi_u32 s68, s2, s3
	s_add_u32 s69, s71, s69
	s_addc_u32 s68, 0, s68
	s_mul_hi_u32 s72, s67, s70
	s_mul_i32 s70, s67, s70
	s_add_u32 s69, s69, s70
	s_mul_hi_u32 s71, s67, s3
	s_addc_u32 s68, s68, s72
	s_addc_u32 s69, s71, 0
	s_mul_i32 s3, s67, s3
	s_add_u32 s3, s68, s3
	s_addc_u32 s68, 0, s69
	s_add_u32 s69, s2, s3
	s_cselect_b64 s[2:3], -1, 0
	s_cmp_lg_u64 s[2:3], 0
	s_addc_u32 s67, s67, s68
	s_mul_i32 s2, s4, s67
	s_mul_hi_u32 s3, s4, s69
	s_add_i32 s2, s3, s2
	s_mul_i32 s5, s5, s69
	s_add_i32 s2, s2, s5
	s_mul_i32 s4, s4, s69
	s_mul_hi_u32 s5, s67, s4
	s_mul_i32 s68, s67, s4
	s_mul_i32 s71, s69, s2
	s_mul_hi_u32 s4, s69, s4
	s_mul_hi_u32 s70, s69, s2
	s_add_u32 s4, s4, s71
	s_addc_u32 s70, 0, s70
	s_add_u32 s4, s4, s68
	s_mul_hi_u32 s3, s67, s2
	s_addc_u32 s4, s70, s5
	s_addc_u32 s3, s3, 0
	s_mul_i32 s2, s67, s2
	s_add_u32 s2, s4, s2
	s_addc_u32 s4, 0, s3
	s_add_u32 s5, s69, s2
	s_cselect_b64 s[2:3], -1, 0
	s_cmp_lg_u64 s[2:3], 0
	v_lshl_add_u64 v[12:13], v[14:15], 0, v[16:17]
	s_addc_u32 s4, s67, s4
	v_xor_b32_e32 v33, v12, v16
	v_xor_b32_e32 v17, v13, v16
	v_mad_u64_u32 v[12:13], s[2:3], v33, s4, 0
	v_mul_hi_u32 v14, v33, s5
	v_mov_b32_e32 v15, v32
	v_lshl_add_u64 v[12:13], v[14:15], 0, v[12:13]
	v_mad_u64_u32 v[18:19], s[2:3], v17, s5, 0
	v_add_co_u32_e32 v12, vcc, v12, v18
	v_mad_u64_u32 v[14:15], s[2:3], v17, s4, 0
	s_nop 0
	v_addc_co_u32_e32 v12, vcc, v13, v19, vcc
	v_mov_b32_e32 v13, v32
	s_nop 0
	v_addc_co_u32_e32 v15, vcc, 0, v15, vcc
	v_lshl_add_u64 v[12:13], v[12:13], 0, v[14:15]
	v_mul_lo_u32 v14, s61, v12
	v_mul_lo_u32 v15, s60, v13
	v_mad_u64_u32 v[12:13], s[2:3], s60, v12, 0
	v_add3_u32 v13, v13, v15, v14
	v_sub_u32_e32 v14, v17, v13
	v_mov_b32_e32 v15, s61
	v_sub_co_u32_e32 v12, vcc, v33, v12
	s_nop 1
	v_subb_co_u32_e64 v14, s[2:3], v14, v15, vcc
	v_subrev_co_u32_e64 v18, s[2:3], s60, v12
	v_subb_co_u32_e32 v13, vcc, v17, v13, vcc
	s_nop 0
	v_subbrev_co_u32_e64 v19, s[4:5], 0, v14, s[2:3]
	v_cmp_le_u32_e64 s[4:5], s61, v19
	v_subb_co_u32_e64 v14, s[2:3], v14, v15, s[2:3]
	s_nop 0
	v_cndmask_b32_e64 v33, 0, -1, s[4:5]
	v_cmp_le_u32_e64 s[4:5], s60, v18
	v_subrev_co_u32_e64 v15, s[2:3], s60, v18
	s_nop 0
	v_cndmask_b32_e64 v44, 0, -1, s[4:5]
	v_cmp_eq_u32_e64 s[4:5], s61, v19
	v_subbrev_co_u32_e64 v14, s[2:3], 0, v14, s[2:3]
	s_nop 0
	v_cndmask_b32_e64 v33, v33, v44, s[4:5]
	v_cmp_le_u32_e32 vcc, s61, v13
	v_cmp_ne_u32_e64 s[2:3], 0, v33
	s_nop 0
	v_cndmask_b32_e64 v17, 0, -1, vcc
	v_cmp_le_u32_e32 vcc, s60, v12
	v_cndmask_b32_e64 v14, v19, v14, s[2:3]
	s_nop 0
	v_cndmask_b32_e64 v19, 0, -1, vcc
	v_cmp_eq_u32_e32 vcc, s61, v13
	s_nop 1
	v_cndmask_b32_e32 v17, v17, v19, vcc
	v_cmp_ne_u32_e32 vcc, 0, v17
	s_nop 1
	v_cndmask_b32_e32 v13, v13, v14, vcc
	v_cndmask_b32_e64 v14, v18, v15, s[2:3]
	v_cndmask_b32_e32 v12, v12, v14, vcc
	v_xor_b32_e32 v12, v12, v16
	v_xor_b32_e32 v13, v13, v16
	v_sub_co_u32_e32 v12, vcc, v12, v16
                                        ; implicit-def: $vgpr14_vgpr15
	s_nop 1
	v_subb_co_u32_e32 v13, vcc, v13, v16, vcc
.LBB32_33:                              ;   in Loop: Header=BB32_11 Depth=1
	s_andn2_saveexec_b64 s[2:3], s[58:59]
	s_cbranch_execz .LBB32_35
; %bb.34:                               ;   in Loop: Header=BB32_11 Depth=1
	v_cvt_f32_u32_e32 v12, s20
	s_sub_i32 s4, 0, s20
	v_rcp_iflag_f32_e32 v12, v12
	s_nop 0
	v_mul_f32_e32 v12, 0x4f7ffffe, v12
	v_cvt_u32_f32_e32 v12, v12
	v_mul_lo_u32 v13, s4, v12
	v_mul_hi_u32 v13, v12, v13
	v_add_u32_e32 v12, v12, v13
	v_mul_hi_u32 v12, v14, v12
	v_mul_lo_u32 v12, v12, s20
	v_sub_u32_e32 v12, v14, v12
	v_subrev_u32_e32 v13, s20, v12
	v_cmp_le_u32_e32 vcc, s20, v12
	s_nop 1
	v_cndmask_b32_e32 v12, v12, v13, vcc
	v_subrev_u32_e32 v13, s20, v12
	v_cmp_le_u32_e32 vcc, s20, v12
	s_nop 1
	v_cndmask_b32_e32 v12, v12, v13, vcc
	v_mov_b32_e32 v13, v32
.LBB32_35:                              ;   in Loop: Header=BB32_11 Depth=1
	s_or_b64 exec, exec, s[2:3]
	s_and_b64 vcc, exec, s[0:1]
	s_cbranch_vccnz .LBB32_29
.LBB32_36:                              ;   in Loop: Header=BB32_11 Depth=1
	v_mad_u64_u32 v[44:45], s[2:3], s40, v38, v[30:31]
	v_mul_lo_u32 v14, s40, v39
	v_mul_lo_u32 v15, s41, v38
	v_add3_u32 v45, v15, v45, v14
	v_or_b32_e32 v33, s21, v45
	v_cmp_ne_u64_e32 vcc, 0, v[32:33]
	s_and_saveexec_b64 s[2:3], vcc
	s_xor_b64 s[58:59], exec, s[2:3]
	s_cbranch_execz .LBB32_38
; %bb.37:                               ;   in Loop: Header=BB32_11 Depth=1
	s_ashr_i32 s2, s21, 31
	s_add_u32 s4, s20, s2
	s_mov_b32 s3, s2
	s_addc_u32 s5, s21, s2
	s_xor_b64 s[60:61], s[4:5], s[2:3]
	v_cvt_f32_u32_e32 v14, s60
	v_cvt_f32_u32_e32 v15, s61
	s_sub_u32 s4, 0, s60
	s_subb_u32 s5, 0, s61
	v_ashrrev_i32_e32 v46, 31, v45
	v_fmac_f32_e32 v14, 0x4f800000, v15
	v_rcp_f32_e32 v14, v14
	v_mov_b32_e32 v47, v46
	v_mul_f32_e32 v14, 0x5f7ffffc, v14
	v_mul_f32_e32 v15, 0x2f800000, v14
	v_trunc_f32_e32 v15, v15
	v_fmac_f32_e32 v14, 0xcf800000, v15
	v_cvt_u32_f32_e32 v15, v15
	v_cvt_u32_f32_e32 v14, v14
	v_readfirstlane_b32 s67, v15
	v_readfirstlane_b32 s2, v14
	s_mul_i32 s3, s4, s67
	s_mul_hi_u32 s69, s4, s2
	s_mul_i32 s68, s5, s2
	s_add_i32 s3, s69, s3
	s_add_i32 s3, s3, s68
	s_mul_i32 s70, s4, s2
	s_mul_i32 s69, s2, s3
	s_mul_hi_u32 s71, s2, s70
	s_mul_hi_u32 s68, s2, s3
	s_add_u32 s69, s71, s69
	s_addc_u32 s68, 0, s68
	s_mul_hi_u32 s72, s67, s70
	s_mul_i32 s70, s67, s70
	s_add_u32 s69, s69, s70
	s_mul_hi_u32 s71, s67, s3
	s_addc_u32 s68, s68, s72
	s_addc_u32 s69, s71, 0
	s_mul_i32 s3, s67, s3
	s_add_u32 s3, s68, s3
	s_addc_u32 s68, 0, s69
	s_add_u32 s69, s2, s3
	s_cselect_b64 s[2:3], -1, 0
	s_cmp_lg_u64 s[2:3], 0
	s_addc_u32 s67, s67, s68
	s_mul_i32 s2, s4, s67
	s_mul_hi_u32 s3, s4, s69
	s_add_i32 s2, s3, s2
	s_mul_i32 s5, s5, s69
	s_add_i32 s2, s2, s5
	s_mul_i32 s4, s4, s69
	s_mul_hi_u32 s5, s67, s4
	s_mul_i32 s68, s67, s4
	s_mul_i32 s71, s69, s2
	s_mul_hi_u32 s4, s69, s4
	s_mul_hi_u32 s70, s69, s2
	s_add_u32 s4, s4, s71
	s_addc_u32 s70, 0, s70
	s_add_u32 s4, s4, s68
	s_mul_hi_u32 s3, s67, s2
	s_addc_u32 s4, s70, s5
	s_addc_u32 s3, s3, 0
	s_mul_i32 s2, s67, s2
	s_add_u32 s2, s4, s2
	s_addc_u32 s4, 0, s3
	s_add_u32 s5, s69, s2
	s_cselect_b64 s[2:3], -1, 0
	s_cmp_lg_u64 s[2:3], 0
	v_lshl_add_u64 v[14:15], v[44:45], 0, v[46:47]
	s_addc_u32 s4, s67, s4
	v_xor_b32_e32 v47, v14, v46
	v_xor_b32_e32 v33, v15, v46
	v_mad_u64_u32 v[14:15], s[2:3], v47, s4, 0
	v_mul_hi_u32 v44, v47, s5
	v_mov_b32_e32 v45, v32
	v_lshl_add_u64 v[14:15], v[44:45], 0, v[14:15]
	v_mad_u64_u32 v[48:49], s[2:3], v33, s5, 0
	v_add_co_u32_e32 v14, vcc, v14, v48
	v_mad_u64_u32 v[44:45], s[2:3], v33, s4, 0
	s_nop 0
	v_addc_co_u32_e32 v14, vcc, v15, v49, vcc
	v_mov_b32_e32 v15, v32
	s_nop 0
	v_addc_co_u32_e32 v45, vcc, 0, v45, vcc
	v_lshl_add_u64 v[14:15], v[14:15], 0, v[44:45]
	v_mul_lo_u32 v44, s61, v14
	v_mul_lo_u32 v45, s60, v15
	v_mad_u64_u32 v[14:15], s[2:3], s60, v14, 0
	v_add3_u32 v15, v15, v45, v44
	v_sub_u32_e32 v44, v33, v15
	v_mov_b32_e32 v45, s61
	v_sub_co_u32_e32 v14, vcc, v47, v14
	s_nop 1
	v_subb_co_u32_e64 v44, s[2:3], v44, v45, vcc
	v_subrev_co_u32_e64 v47, s[2:3], s60, v14
	v_subb_co_u32_e32 v15, vcc, v33, v15, vcc
	s_nop 0
	v_subbrev_co_u32_e64 v48, s[4:5], 0, v44, s[2:3]
	v_cmp_le_u32_e64 s[4:5], s61, v48
	v_subb_co_u32_e64 v44, s[2:3], v44, v45, s[2:3]
	s_nop 0
	v_cndmask_b32_e64 v49, 0, -1, s[4:5]
	v_cmp_le_u32_e64 s[4:5], s60, v47
	v_subrev_co_u32_e64 v45, s[2:3], s60, v47
	s_nop 0
	v_cndmask_b32_e64 v50, 0, -1, s[4:5]
	v_cmp_eq_u32_e64 s[4:5], s61, v48
	v_subbrev_co_u32_e64 v44, s[2:3], 0, v44, s[2:3]
	s_nop 0
	v_cndmask_b32_e64 v49, v49, v50, s[4:5]
	v_cmp_le_u32_e32 vcc, s61, v15
	v_cmp_ne_u32_e64 s[2:3], 0, v49
	s_nop 0
	v_cndmask_b32_e64 v33, 0, -1, vcc
	v_cmp_le_u32_e32 vcc, s60, v14
	v_cndmask_b32_e64 v44, v48, v44, s[2:3]
	s_nop 0
	v_cndmask_b32_e64 v48, 0, -1, vcc
	v_cmp_eq_u32_e32 vcc, s61, v15
	s_nop 1
	v_cndmask_b32_e32 v33, v33, v48, vcc
	v_cmp_ne_u32_e32 vcc, 0, v33
	v_cndmask_b32_e64 v33, v47, v45, s[2:3]
	s_nop 0
	v_cndmask_b32_e32 v14, v14, v33, vcc
	v_cndmask_b32_e32 v15, v15, v44, vcc
	v_xor_b32_e32 v14, v14, v46
	v_xor_b32_e32 v15, v15, v46
	v_sub_co_u32_e32 v14, vcc, v14, v46
                                        ; implicit-def: $vgpr44_vgpr45
	s_nop 1
	v_subb_co_u32_e32 v15, vcc, v15, v46, vcc
.LBB32_38:                              ;   in Loop: Header=BB32_11 Depth=1
	s_andn2_saveexec_b64 s[2:3], s[58:59]
	s_cbranch_execz .LBB32_40
; %bb.39:                               ;   in Loop: Header=BB32_11 Depth=1
	v_cvt_f32_u32_e32 v14, s20
	s_sub_i32 s4, 0, s20
	v_rcp_iflag_f32_e32 v14, v14
	s_nop 0
	v_mul_f32_e32 v14, 0x4f7ffffe, v14
	v_cvt_u32_f32_e32 v14, v14
	v_mul_lo_u32 v15, s4, v14
	v_mul_hi_u32 v15, v14, v15
	v_add_u32_e32 v14, v14, v15
	v_mul_hi_u32 v14, v44, v14
	v_mul_lo_u32 v14, v14, s20
	v_sub_u32_e32 v14, v44, v14
	v_subrev_u32_e32 v15, s20, v14
	v_cmp_le_u32_e32 vcc, s20, v14
	s_nop 1
	v_cndmask_b32_e32 v14, v14, v15, vcc
	v_subrev_u32_e32 v15, s20, v14
	v_cmp_le_u32_e32 vcc, s20, v14
	s_nop 1
	v_cndmask_b32_e32 v14, v14, v15, vcc
	v_mov_b32_e32 v15, v32
.LBB32_40:                              ;   in Loop: Header=BB32_11 Depth=1
	s_or_b64 exec, exec, s[2:3]
	s_and_b64 vcc, exec, s[0:1]
	s_cbranch_vccnz .LBB32_30
.LBB32_41:                              ;   in Loop: Header=BB32_11 Depth=1
	v_mad_u64_u32 v[44:45], s[2:3], s40, v40, v[28:29]
	v_mul_lo_u32 v16, s40, v41
	v_mul_lo_u32 v17, s41, v40
	v_add3_u32 v45, v17, v45, v16
	v_or_b32_e32 v33, s21, v45
	v_cmp_ne_u64_e32 vcc, 0, v[32:33]
	s_and_saveexec_b64 s[2:3], vcc
	s_xor_b64 s[58:59], exec, s[2:3]
	s_cbranch_execz .LBB32_43
; %bb.42:                               ;   in Loop: Header=BB32_11 Depth=1
	s_ashr_i32 s2, s21, 31
	s_add_u32 s4, s20, s2
	s_mov_b32 s3, s2
	s_addc_u32 s5, s21, s2
	s_xor_b64 s[60:61], s[4:5], s[2:3]
	v_cvt_f32_u32_e32 v16, s60
	v_cvt_f32_u32_e32 v17, s61
	s_sub_u32 s4, 0, s60
	s_subb_u32 s5, 0, s61
	v_ashrrev_i32_e32 v46, 31, v45
	v_fmac_f32_e32 v16, 0x4f800000, v17
	v_rcp_f32_e32 v16, v16
	v_mov_b32_e32 v47, v46
	v_mul_f32_e32 v16, 0x5f7ffffc, v16
	v_mul_f32_e32 v17, 0x2f800000, v16
	v_trunc_f32_e32 v17, v17
	v_fmac_f32_e32 v16, 0xcf800000, v17
	v_cvt_u32_f32_e32 v17, v17
	v_cvt_u32_f32_e32 v16, v16
	v_readfirstlane_b32 s67, v17
	v_readfirstlane_b32 s2, v16
	s_mul_i32 s3, s4, s67
	s_mul_hi_u32 s69, s4, s2
	s_mul_i32 s68, s5, s2
	s_add_i32 s3, s69, s3
	s_add_i32 s3, s3, s68
	s_mul_i32 s70, s4, s2
	s_mul_i32 s69, s2, s3
	s_mul_hi_u32 s71, s2, s70
	s_mul_hi_u32 s68, s2, s3
	s_add_u32 s69, s71, s69
	s_addc_u32 s68, 0, s68
	s_mul_hi_u32 s72, s67, s70
	s_mul_i32 s70, s67, s70
	s_add_u32 s69, s69, s70
	s_mul_hi_u32 s71, s67, s3
	s_addc_u32 s68, s68, s72
	s_addc_u32 s69, s71, 0
	s_mul_i32 s3, s67, s3
	s_add_u32 s3, s68, s3
	s_addc_u32 s68, 0, s69
	s_add_u32 s69, s2, s3
	s_cselect_b64 s[2:3], -1, 0
	s_cmp_lg_u64 s[2:3], 0
	s_addc_u32 s67, s67, s68
	s_mul_i32 s2, s4, s67
	s_mul_hi_u32 s3, s4, s69
	s_add_i32 s2, s3, s2
	s_mul_i32 s5, s5, s69
	s_add_i32 s2, s2, s5
	s_mul_i32 s4, s4, s69
	s_mul_hi_u32 s5, s67, s4
	s_mul_i32 s68, s67, s4
	s_mul_i32 s71, s69, s2
	s_mul_hi_u32 s4, s69, s4
	s_mul_hi_u32 s70, s69, s2
	s_add_u32 s4, s4, s71
	s_addc_u32 s70, 0, s70
	s_add_u32 s4, s4, s68
	s_mul_hi_u32 s3, s67, s2
	s_addc_u32 s4, s70, s5
	s_addc_u32 s3, s3, 0
	s_mul_i32 s2, s67, s2
	s_add_u32 s2, s4, s2
	s_addc_u32 s4, 0, s3
	s_add_u32 s5, s69, s2
	s_cselect_b64 s[2:3], -1, 0
	s_cmp_lg_u64 s[2:3], 0
	v_lshl_add_u64 v[16:17], v[44:45], 0, v[46:47]
	s_addc_u32 s4, s67, s4
	v_xor_b32_e32 v47, v16, v46
	v_xor_b32_e32 v33, v17, v46
	v_mad_u64_u32 v[16:17], s[2:3], v47, s4, 0
	v_mul_hi_u32 v44, v47, s5
	v_mov_b32_e32 v45, v32
	v_lshl_add_u64 v[16:17], v[44:45], 0, v[16:17]
	v_mad_u64_u32 v[48:49], s[2:3], v33, s5, 0
	v_add_co_u32_e32 v16, vcc, v16, v48
	v_mad_u64_u32 v[44:45], s[2:3], v33, s4, 0
	s_nop 0
	v_addc_co_u32_e32 v16, vcc, v17, v49, vcc
	v_mov_b32_e32 v17, v32
	s_nop 0
	v_addc_co_u32_e32 v45, vcc, 0, v45, vcc
	v_lshl_add_u64 v[16:17], v[16:17], 0, v[44:45]
	v_mul_lo_u32 v44, s61, v16
	v_mul_lo_u32 v45, s60, v17
	v_mad_u64_u32 v[16:17], s[2:3], s60, v16, 0
	v_add3_u32 v17, v17, v45, v44
	v_sub_u32_e32 v44, v33, v17
	v_mov_b32_e32 v45, s61
	v_sub_co_u32_e32 v16, vcc, v47, v16
	s_nop 1
	v_subb_co_u32_e64 v44, s[2:3], v44, v45, vcc
	v_subrev_co_u32_e64 v47, s[2:3], s60, v16
	v_subb_co_u32_e32 v17, vcc, v33, v17, vcc
	s_nop 0
	v_subbrev_co_u32_e64 v48, s[4:5], 0, v44, s[2:3]
	v_cmp_le_u32_e64 s[4:5], s61, v48
	v_subb_co_u32_e64 v44, s[2:3], v44, v45, s[2:3]
	s_nop 0
	v_cndmask_b32_e64 v49, 0, -1, s[4:5]
	v_cmp_le_u32_e64 s[4:5], s60, v47
	v_subrev_co_u32_e64 v45, s[2:3], s60, v47
	s_nop 0
	v_cndmask_b32_e64 v50, 0, -1, s[4:5]
	v_cmp_eq_u32_e64 s[4:5], s61, v48
	v_subbrev_co_u32_e64 v44, s[2:3], 0, v44, s[2:3]
	s_nop 0
	v_cndmask_b32_e64 v49, v49, v50, s[4:5]
	v_cmp_le_u32_e32 vcc, s61, v17
	v_cmp_ne_u32_e64 s[2:3], 0, v49
	s_nop 0
	v_cndmask_b32_e64 v33, 0, -1, vcc
	v_cmp_le_u32_e32 vcc, s60, v16
	v_cndmask_b32_e64 v44, v48, v44, s[2:3]
	s_nop 0
	v_cndmask_b32_e64 v48, 0, -1, vcc
	v_cmp_eq_u32_e32 vcc, s61, v17
	s_nop 1
	v_cndmask_b32_e32 v33, v33, v48, vcc
	v_cmp_ne_u32_e32 vcc, 0, v33
	v_cndmask_b32_e64 v33, v47, v45, s[2:3]
	s_nop 0
	v_cndmask_b32_e32 v16, v16, v33, vcc
	v_cndmask_b32_e32 v17, v17, v44, vcc
	v_xor_b32_e32 v16, v16, v46
	v_xor_b32_e32 v17, v17, v46
	v_sub_co_u32_e32 v16, vcc, v16, v46
                                        ; implicit-def: $vgpr44_vgpr45
	s_nop 1
	v_subb_co_u32_e32 v17, vcc, v17, v46, vcc
.LBB32_43:                              ;   in Loop: Header=BB32_11 Depth=1
	s_andn2_saveexec_b64 s[2:3], s[58:59]
	s_cbranch_execz .LBB32_45
; %bb.44:                               ;   in Loop: Header=BB32_11 Depth=1
	v_cvt_f32_u32_e32 v16, s20
	s_sub_i32 s4, 0, s20
	v_rcp_iflag_f32_e32 v16, v16
	s_nop 0
	v_mul_f32_e32 v16, 0x4f7ffffe, v16
	v_cvt_u32_f32_e32 v16, v16
	v_mul_lo_u32 v17, s4, v16
	v_mul_hi_u32 v17, v16, v17
	v_add_u32_e32 v16, v16, v17
	v_mul_hi_u32 v16, v44, v16
	v_mul_lo_u32 v16, v16, s20
	v_sub_u32_e32 v16, v44, v16
	v_subrev_u32_e32 v17, s20, v16
	v_cmp_le_u32_e32 vcc, s20, v16
	s_nop 1
	v_cndmask_b32_e32 v16, v16, v17, vcc
	v_subrev_u32_e32 v17, s20, v16
	v_cmp_le_u32_e32 vcc, s20, v16
	s_nop 1
	v_cndmask_b32_e32 v16, v16, v17, vcc
	v_mov_b32_e32 v17, v32
.LBB32_45:                              ;   in Loop: Header=BB32_11 Depth=1
	s_or_b64 exec, exec, s[2:3]
	s_and_b64 vcc, exec, s[0:1]
	s_cbranch_vccnz .LBB32_10
.LBB32_46:                              ;   in Loop: Header=BB32_11 Depth=1
	v_mad_u64_u32 v[44:45], s[0:1], s40, v42, v[0:1]
	v_mul_lo_u32 v18, s40, v43
	v_mul_lo_u32 v19, s41, v42
	v_add3_u32 v45, v19, v45, v18
	v_or_b32_e32 v33, s21, v45
	v_cmp_ne_u64_e32 vcc, 0, v[32:33]
	s_and_saveexec_b64 s[0:1], vcc
	s_xor_b64 s[4:5], exec, s[0:1]
	s_cbranch_execz .LBB32_48
; %bb.47:                               ;   in Loop: Header=BB32_11 Depth=1
	s_ashr_i32 s0, s21, 31
	s_add_u32 s2, s20, s0
	s_mov_b32 s1, s0
	s_addc_u32 s3, s21, s0
	s_xor_b64 s[58:59], s[2:3], s[0:1]
	v_cvt_f32_u32_e32 v18, s58
	v_cvt_f32_u32_e32 v19, s59
	s_sub_u32 s2, 0, s58
	s_subb_u32 s3, 0, s59
	v_ashrrev_i32_e32 v46, 31, v45
	v_fmac_f32_e32 v18, 0x4f800000, v19
	v_rcp_f32_e32 v18, v18
	v_mov_b32_e32 v47, v46
	v_mul_f32_e32 v18, 0x5f7ffffc, v18
	v_mul_f32_e32 v19, 0x2f800000, v18
	v_trunc_f32_e32 v19, v19
	v_fmac_f32_e32 v18, 0xcf800000, v19
	v_cvt_u32_f32_e32 v19, v19
	v_cvt_u32_f32_e32 v18, v18
	v_readfirstlane_b32 s60, v19
	v_readfirstlane_b32 s0, v18
	s_mul_i32 s1, s2, s60
	s_mul_hi_u32 s67, s2, s0
	s_mul_i32 s61, s3, s0
	s_add_i32 s1, s67, s1
	s_add_i32 s1, s1, s61
	s_mul_i32 s68, s2, s0
	s_mul_i32 s67, s0, s1
	s_mul_hi_u32 s69, s0, s68
	s_mul_hi_u32 s61, s0, s1
	s_add_u32 s67, s69, s67
	s_addc_u32 s61, 0, s61
	s_mul_hi_u32 s70, s60, s68
	s_mul_i32 s68, s60, s68
	s_add_u32 s67, s67, s68
	s_mul_hi_u32 s69, s60, s1
	s_addc_u32 s61, s61, s70
	s_addc_u32 s67, s69, 0
	s_mul_i32 s1, s60, s1
	s_add_u32 s1, s61, s1
	s_addc_u32 s61, 0, s67
	s_add_u32 s67, s0, s1
	s_cselect_b64 s[0:1], -1, 0
	s_cmp_lg_u64 s[0:1], 0
	s_addc_u32 s60, s60, s61
	s_mul_i32 s0, s2, s60
	s_mul_hi_u32 s1, s2, s67
	s_add_i32 s0, s1, s0
	s_mul_i32 s3, s3, s67
	s_add_i32 s0, s0, s3
	s_mul_i32 s2, s2, s67
	s_mul_hi_u32 s3, s60, s2
	s_mul_i32 s61, s60, s2
	s_mul_i32 s69, s67, s0
	s_mul_hi_u32 s2, s67, s2
	s_mul_hi_u32 s68, s67, s0
	s_add_u32 s2, s2, s69
	s_addc_u32 s68, 0, s68
	s_add_u32 s2, s2, s61
	s_mul_hi_u32 s1, s60, s0
	s_addc_u32 s2, s68, s3
	s_addc_u32 s1, s1, 0
	s_mul_i32 s0, s60, s0
	s_add_u32 s0, s2, s0
	s_addc_u32 s2, 0, s1
	s_add_u32 s3, s67, s0
	s_cselect_b64 s[0:1], -1, 0
	s_cmp_lg_u64 s[0:1], 0
	v_lshl_add_u64 v[18:19], v[44:45], 0, v[46:47]
	s_addc_u32 s2, s60, s2
	v_xor_b32_e32 v47, v18, v46
	v_xor_b32_e32 v33, v19, v46
	v_mad_u64_u32 v[18:19], s[0:1], v47, s2, 0
	v_mul_hi_u32 v44, v47, s3
	v_mov_b32_e32 v45, v32
	v_lshl_add_u64 v[18:19], v[44:45], 0, v[18:19]
	v_mad_u64_u32 v[48:49], s[0:1], v33, s3, 0
	v_add_co_u32_e32 v18, vcc, v18, v48
	v_mad_u64_u32 v[44:45], s[0:1], v33, s2, 0
	s_nop 0
	v_addc_co_u32_e32 v18, vcc, v19, v49, vcc
	v_mov_b32_e32 v19, v32
	s_nop 0
	v_addc_co_u32_e32 v45, vcc, 0, v45, vcc
	v_lshl_add_u64 v[18:19], v[18:19], 0, v[44:45]
	v_mul_lo_u32 v44, s59, v18
	v_mul_lo_u32 v45, s58, v19
	v_mad_u64_u32 v[18:19], s[0:1], s58, v18, 0
	v_add3_u32 v19, v19, v45, v44
	v_sub_u32_e32 v44, v33, v19
	v_mov_b32_e32 v45, s59
	v_sub_co_u32_e32 v18, vcc, v47, v18
	s_nop 1
	v_subb_co_u32_e64 v44, s[0:1], v44, v45, vcc
	v_subrev_co_u32_e64 v47, s[0:1], s58, v18
	v_subb_co_u32_e32 v19, vcc, v33, v19, vcc
	s_nop 0
	v_subbrev_co_u32_e64 v48, s[2:3], 0, v44, s[0:1]
	v_cmp_le_u32_e64 s[2:3], s59, v48
	v_subb_co_u32_e64 v44, s[0:1], v44, v45, s[0:1]
	s_nop 0
	v_cndmask_b32_e64 v49, 0, -1, s[2:3]
	v_cmp_le_u32_e64 s[2:3], s58, v47
	v_subrev_co_u32_e64 v45, s[0:1], s58, v47
	s_nop 0
	v_cndmask_b32_e64 v50, 0, -1, s[2:3]
	v_cmp_eq_u32_e64 s[2:3], s59, v48
	v_subbrev_co_u32_e64 v44, s[0:1], 0, v44, s[0:1]
	s_nop 0
	v_cndmask_b32_e64 v49, v49, v50, s[2:3]
	v_cmp_le_u32_e32 vcc, s59, v19
	v_cmp_ne_u32_e64 s[0:1], 0, v49
	s_nop 0
	v_cndmask_b32_e64 v33, 0, -1, vcc
	v_cmp_le_u32_e32 vcc, s58, v18
	v_cndmask_b32_e64 v44, v48, v44, s[0:1]
	s_nop 0
	v_cndmask_b32_e64 v48, 0, -1, vcc
	v_cmp_eq_u32_e32 vcc, s59, v19
	s_nop 1
	v_cndmask_b32_e32 v33, v33, v48, vcc
	v_cmp_ne_u32_e32 vcc, 0, v33
	v_cndmask_b32_e64 v33, v47, v45, s[0:1]
	s_nop 0
	v_cndmask_b32_e32 v18, v18, v33, vcc
	v_cndmask_b32_e32 v19, v19, v44, vcc
	v_xor_b32_e32 v18, v18, v46
	v_xor_b32_e32 v19, v19, v46
	v_sub_co_u32_e32 v18, vcc, v18, v46
                                        ; implicit-def: $vgpr44_vgpr45
	s_nop 1
	v_subb_co_u32_e32 v19, vcc, v19, v46, vcc
.LBB32_48:                              ;   in Loop: Header=BB32_11 Depth=1
	s_andn2_saveexec_b64 s[0:1], s[4:5]
	s_cbranch_execz .LBB32_9
; %bb.49:                               ;   in Loop: Header=BB32_11 Depth=1
	v_cvt_f32_u32_e32 v18, s20
	s_sub_i32 s2, 0, s20
	v_rcp_iflag_f32_e32 v18, v18
	s_nop 0
	v_mul_f32_e32 v18, 0x4f7ffffe, v18
	v_cvt_u32_f32_e32 v18, v18
	v_mul_lo_u32 v19, s2, v18
	v_mul_hi_u32 v19, v18, v19
	v_add_u32_e32 v18, v18, v19
	v_mul_hi_u32 v18, v44, v18
	v_mul_lo_u32 v18, v18, s20
	v_sub_u32_e32 v18, v44, v18
	v_subrev_u32_e32 v19, s20, v18
	v_cmp_le_u32_e32 vcc, s20, v18
	s_nop 1
	v_cndmask_b32_e32 v18, v18, v19, vcc
	v_subrev_u32_e32 v19, s20, v18
	v_cmp_le_u32_e32 vcc, s20, v18
	s_nop 1
	v_cndmask_b32_e32 v18, v18, v19, vcc
	v_mov_b32_e32 v19, v32
	s_branch .LBB32_9
.LBB32_50:
	s_or_b64 exec, exec, s[50:51]
	v_mad_u64_u32 v[2:3], s[0:1], v22, s10, v[2:3]
	v_mul_lo_u32 v0, v22, s11
	v_mul_lo_u32 v1, v23, s10
	v_cmp_ne_u64_e32 vcc, v[20:21], v[22:23]
	v_add3_u32 v3, v1, v3, v0
	v_mov_b64_e32 v[6:7], s[52:53]
	v_mov_b64_e32 v[4:5], s[40:41]
	s_and_b64 s[0:1], vcc, exec
	s_andn2_saveexec_b64 s[2:3], s[24:25]
	s_cbranch_execz .LBB32_7
.LBB32_51:
	s_sub_u32 s4, 0, s8
	s_subb_u32 s5, 0, s9
	s_lshl_b64 s[24:25], s[10:11], 1
	v_mov_b64_e32 v[4:5], s[4:5]
	v_mov_b64_e32 v[6:7], s[24:25]
	s_or_b64 s[0:1], s[0:1], exec
	s_or_b64 exec, exec, s[2:3]
	s_and_b64 exec, exec, s[0:1]
	s_cbranch_execz .LBB32_64
.LBB32_52:
	v_cvt_f32_u32_e32 v8, s8
	s_sub_u32 s18, 0, s18
	v_cndmask_b32_e64 v10, 0, 1, s[22:23]
	s_subb_u32 s19, 0, s19
	v_rcp_iflag_f32_e32 v9, v8
	s_sub_i32 s2, 0, s8
	v_cmp_ne_u32_e64 s[0:1], 1, v10
	s_mov_b64 s[24:25], 0
	v_mul_f32_e32 v9, 0x4f7ffffe, v9
	v_cvt_u32_f32_e32 v9, v9
	v_lshl_add_u64 v[0:1], v[2:3], 1, s[14:15]
	v_mov_b32_e32 v8, 0
	s_ashr_i32 s14, s9, 31
	v_mul_lo_u32 v10, s2, v9
	v_mul_hi_u32 v10, v9, v10
	v_add_u32_e32 v16, v9, v10
	s_ashr_i32 s22, s21, 31
	s_branch .LBB32_55
.LBB32_53:                              ;   in Loop: Header=BB32_55 Depth=1
	s_or_b64 exec, exec, s[2:3]
	v_ashrrev_i32_e32 v9, 31, v15
	v_and_b32_e32 v13, s21, v9
	v_and_b32_e32 v12, s20, v9
	v_lshl_add_u64 v[12:13], v[12:13], 0, v[14:15]
	v_mov_b32_e32 v9, s21
	v_sub_co_u32_e32 v14, vcc, s20, v12
	s_nop 1
	v_subb_co_u32_e32 v9, vcc, v9, v13, vcc
	v_cmp_gt_i64_e32 vcc, s[16:17], v[12:13]
	s_nop 1
	v_cndmask_b32_e32 v13, v9, v13, vcc
	v_cndmask_b32_e32 v12, v14, v12, vcc
.LBB32_54:                              ;   in Loop: Header=BB32_55 Depth=1
	v_mul_lo_u32 v9, v11, s16
	v_mul_lo_u32 v14, v10, s17
	v_mad_u64_u32 v[10:11], s[2:3], v10, s16, 0
	v_add3_u32 v11, v11, v14, v9
	v_lshl_add_u64 v[10:11], v[10:11], 1, s[12:13]
	v_lshl_add_u64 v[10:11], v[12:13], 1, v[10:11]
	global_load_ushort v9, v[10:11], off
	v_lshl_add_u64 v[2:3], v[2:3], 0, s[10:11]
	v_cmp_le_i64_e32 vcc, s[6:7], v[2:3]
	s_or_b64 s[24:25], vcc, s[24:25]
	s_waitcnt vmcnt(0)
	global_store_short v[0:1], v9, off
	v_lshl_add_u64 v[0:1], v[0:1], 0, v[6:7]
	s_andn2_b64 exec, exec, s[24:25]
	s_cbranch_execz .LBB32_64
.LBB32_55:                              ; =>This Inner Loop Header: Depth=1
	v_or_b32_e32 v9, s9, v3
	v_cmp_ne_u64_e32 vcc, 0, v[8:9]
                                        ; implicit-def: $vgpr10_vgpr11
	s_and_saveexec_b64 s[2:3], vcc
	s_xor_b64 s[4:5], exec, s[2:3]
	s_cbranch_execnz .LBB32_58
; %bb.56:                               ;   in Loop: Header=BB32_55 Depth=1
	s_andn2_saveexec_b64 s[2:3], s[4:5]
	s_cbranch_execnz .LBB32_59
.LBB32_57:                              ;   in Loop: Header=BB32_55 Depth=1
	s_or_b64 exec, exec, s[2:3]
	s_and_b64 vcc, exec, s[0:1]
	v_mov_b64_e32 v[12:13], 0
	s_cbranch_vccnz .LBB32_54
	s_branch .LBB32_60
.LBB32_58:                              ;   in Loop: Header=BB32_55 Depth=1
	s_add_u32 s2, s8, s14
	s_mov_b32 s15, s14
	s_addc_u32 s3, s9, s14
	s_xor_b64 s[26:27], s[2:3], s[14:15]
	v_cvt_f32_u32_e32 v9, s26
	v_cvt_f32_u32_e32 v10, s27
	s_sub_u32 s15, 0, s26
	s_subb_u32 s23, 0, s27
	v_mov_b32_e32 v15, v8
	v_fmac_f32_e32 v9, 0x4f800000, v10
	v_rcp_f32_e32 v9, v9
	s_nop 0
	v_mul_f32_e32 v9, 0x5f7ffffc, v9
	v_mul_f32_e32 v10, 0x2f800000, v9
	v_trunc_f32_e32 v10, v10
	v_fmac_f32_e32 v9, 0xcf800000, v10
	v_cvt_u32_f32_e32 v10, v10
	v_cvt_u32_f32_e32 v9, v9
	v_readfirstlane_b32 s28, v10
	v_readfirstlane_b32 s2, v9
	s_mul_i32 s3, s15, s28
	s_mul_hi_u32 s30, s15, s2
	s_mul_i32 s29, s23, s2
	s_add_i32 s3, s30, s3
	s_add_i32 s3, s3, s29
	s_mul_i32 s31, s15, s2
	s_mul_i32 s30, s2, s3
	s_mul_hi_u32 s33, s2, s31
	s_mul_hi_u32 s29, s2, s3
	s_add_u32 s30, s33, s30
	s_addc_u32 s29, 0, s29
	s_mul_hi_u32 s34, s28, s31
	s_mul_i32 s31, s28, s31
	s_add_u32 s30, s30, s31
	s_mul_hi_u32 s33, s28, s3
	s_addc_u32 s29, s29, s34
	s_addc_u32 s30, s33, 0
	s_mul_i32 s3, s28, s3
	s_add_u32 s3, s29, s3
	s_addc_u32 s29, 0, s30
	s_add_u32 s30, s2, s3
	s_cselect_b64 s[2:3], -1, 0
	s_cmp_lg_u64 s[2:3], 0
	s_addc_u32 s28, s28, s29
	s_mul_i32 s2, s15, s28
	s_mul_hi_u32 s3, s15, s30
	s_add_i32 s2, s3, s2
	s_mul_i32 s23, s23, s30
	s_add_i32 s2, s2, s23
	s_mul_i32 s15, s15, s30
	s_mul_hi_u32 s23, s28, s15
	s_mul_i32 s29, s28, s15
	s_mul_i32 s33, s30, s2
	s_mul_hi_u32 s15, s30, s15
	s_mul_hi_u32 s31, s30, s2
	s_add_u32 s15, s15, s33
	s_addc_u32 s31, 0, s31
	s_add_u32 s15, s15, s29
	s_mul_hi_u32 s3, s28, s2
	s_addc_u32 s15, s31, s23
	s_addc_u32 s3, s3, 0
	s_mul_i32 s2, s28, s2
	s_add_u32 s2, s15, s2
	s_addc_u32 s15, 0, s3
	s_add_u32 s23, s30, s2
	v_ashrrev_i32_e32 v10, 31, v3
	s_cselect_b64 s[2:3], -1, 0
	v_mov_b32_e32 v11, v10
	s_cmp_lg_u64 s[2:3], 0
	v_lshl_add_u64 v[12:13], v[2:3], 0, v[10:11]
	s_addc_u32 s15, s28, s15
	v_xor_b32_e32 v11, v12, v10
	v_xor_b32_e32 v9, v13, v10
	v_mad_u64_u32 v[12:13], s[2:3], v11, s15, 0
	v_mul_hi_u32 v14, v11, s23
	v_lshl_add_u64 v[12:13], v[14:15], 0, v[12:13]
	v_mad_u64_u32 v[18:19], s[2:3], v9, s23, 0
	v_add_co_u32_e32 v12, vcc, v12, v18
	v_mad_u64_u32 v[14:15], s[2:3], v9, s15, 0
	s_nop 0
	v_addc_co_u32_e32 v12, vcc, v13, v19, vcc
	v_mov_b32_e32 v13, v8
	s_nop 0
	v_addc_co_u32_e32 v15, vcc, 0, v15, vcc
	v_lshl_add_u64 v[12:13], v[12:13], 0, v[14:15]
	v_mul_lo_u32 v17, s27, v12
	v_mul_lo_u32 v18, s26, v13
	v_mad_u64_u32 v[14:15], s[2:3], s26, v12, 0
	v_add3_u32 v17, v15, v18, v17
	v_sub_u32_e32 v15, v9, v17
	v_mov_b32_e32 v18, s27
	v_sub_co_u32_e32 v11, vcc, v11, v14
	s_nop 1
	v_subb_co_u32_e64 v14, s[2:3], v15, v18, vcc
	v_subrev_co_u32_e64 v15, s[2:3], s26, v11
	v_subb_co_u32_e32 v9, vcc, v9, v17, vcc
	s_nop 0
	v_subbrev_co_u32_e64 v14, s[2:3], 0, v14, s[2:3]
	v_cmp_le_u32_e64 s[2:3], s27, v14
	v_cmp_le_u32_e32 vcc, s27, v9
	s_nop 0
	v_cndmask_b32_e64 v18, 0, -1, s[2:3]
	v_cmp_le_u32_e64 s[2:3], s26, v15
	v_cndmask_b32_e64 v17, 0, -1, vcc
	v_cmp_le_u32_e32 vcc, s26, v11
	v_cndmask_b32_e64 v15, 0, -1, s[2:3]
	v_cmp_eq_u32_e64 s[2:3], s27, v14
	v_cndmask_b32_e64 v11, 0, -1, vcc
	v_cmp_eq_u32_e32 vcc, s27, v9
	v_cndmask_b32_e64 v20, v18, v15, s[2:3]
	v_lshl_add_u64 v[14:15], v[12:13], 0, 2
	v_lshl_add_u64 v[18:19], v[12:13], 0, 1
	v_cmp_ne_u32_e64 s[2:3], 0, v20
	v_cndmask_b32_e32 v9, v17, v11, vcc
	v_cmp_ne_u32_e32 vcc, 0, v9
	v_cndmask_b32_e64 v11, v18, v14, s[2:3]
	v_cndmask_b32_e64 v15, v19, v15, s[2:3]
	v_cndmask_b32_e32 v11, v12, v11, vcc
	v_xor_b32_e32 v12, s14, v10
	v_cndmask_b32_e32 v9, v13, v15, vcc
	v_xor_b32_e32 v10, v11, v12
	v_xor_b32_e32 v9, v9, v12
	v_sub_co_u32_e32 v10, vcc, v10, v12
	s_nop 1
	v_subb_co_u32_e32 v11, vcc, v9, v12, vcc
	s_andn2_saveexec_b64 s[2:3], s[4:5]
	s_cbranch_execz .LBB32_57
.LBB32_59:                              ;   in Loop: Header=BB32_55 Depth=1
	v_mul_hi_u32 v9, v2, v16
	v_mul_lo_u32 v10, v9, s8
	v_sub_u32_e32 v10, v2, v10
	v_subrev_u32_e32 v11, s8, v10
	v_cmp_le_u32_e32 vcc, s8, v10
	s_nop 1
	v_cndmask_b32_e32 v10, v10, v11, vcc
	v_add_u32_e32 v11, 1, v9
	v_cndmask_b32_e32 v9, v9, v11, vcc
	v_add_u32_e32 v11, 1, v9
	v_cmp_le_u32_e32 vcc, s8, v10
	s_nop 1
	v_cndmask_b32_e32 v10, v9, v11, vcc
	v_mov_b32_e32 v11, v8
	s_or_b64 exec, exec, s[2:3]
	s_and_b64 vcc, exec, s[0:1]
	v_mov_b64_e32 v[12:13], 0
	s_cbranch_vccnz .LBB32_54
.LBB32_60:                              ;   in Loop: Header=BB32_55 Depth=1
	v_lshl_add_u64 v[12:13], s[18:19], 0, v[2:3]
	v_mul_lo_u32 v9, v4, v11
	v_mul_lo_u32 v14, v5, v10
	v_mad_u64_u32 v[12:13], s[2:3], v4, v10, v[12:13]
	v_add3_u32 v13, v14, v13, v9
	v_or_b32_e32 v9, s21, v13
	v_cmp_ne_u64_e32 vcc, 0, v[8:9]
                                        ; implicit-def: $vgpr14_vgpr15
	s_and_saveexec_b64 s[2:3], vcc
	s_xor_b64 s[26:27], exec, s[2:3]
	s_cbranch_execz .LBB32_62
; %bb.61:                               ;   in Loop: Header=BB32_55 Depth=1
	s_add_u32 s2, s20, s22
	s_mov_b32 s23, s22
	s_addc_u32 s3, s21, s22
	s_xor_b64 s[28:29], s[2:3], s[22:23]
	v_cvt_f32_u32_e32 v9, s28
	v_cvt_f32_u32_e32 v14, s29
	s_sub_u32 s4, 0, s28
	s_subb_u32 s5, 0, s29
	v_ashrrev_i32_e32 v18, 31, v13
	v_fmac_f32_e32 v9, 0x4f800000, v14
	v_rcp_f32_e32 v9, v9
	v_mov_b32_e32 v19, v18
	v_lshl_add_u64 v[12:13], v[12:13], 0, v[18:19]
	v_xor_b32_e32 v17, v12, v18
	v_mul_f32_e32 v9, 0x5f7ffffc, v9
	v_mul_f32_e32 v14, 0x2f800000, v9
	v_trunc_f32_e32 v14, v14
	v_fmac_f32_e32 v9, 0xcf800000, v14
	v_cvt_u32_f32_e32 v14, v14
	v_cvt_u32_f32_e32 v9, v9
	v_mov_b32_e32 v15, v8
	v_readfirstlane_b32 s15, v14
	v_readfirstlane_b32 s2, v9
	s_mul_i32 s3, s4, s15
	s_mul_hi_u32 s30, s4, s2
	s_mul_i32 s23, s5, s2
	s_add_i32 s3, s30, s3
	s_add_i32 s3, s3, s23
	s_mul_i32 s31, s4, s2
	s_mul_i32 s30, s2, s3
	s_mul_hi_u32 s33, s2, s31
	s_mul_hi_u32 s23, s2, s3
	s_add_u32 s30, s33, s30
	s_addc_u32 s23, 0, s23
	s_mul_hi_u32 s34, s15, s31
	s_mul_i32 s31, s15, s31
	s_add_u32 s30, s30, s31
	s_mul_hi_u32 s33, s15, s3
	s_addc_u32 s23, s23, s34
	s_addc_u32 s30, s33, 0
	s_mul_i32 s3, s15, s3
	s_add_u32 s3, s23, s3
	s_addc_u32 s23, 0, s30
	s_add_u32 s30, s2, s3
	s_cselect_b64 s[2:3], -1, 0
	s_cmp_lg_u64 s[2:3], 0
	s_addc_u32 s15, s15, s23
	s_mul_i32 s2, s4, s15
	s_mul_hi_u32 s3, s4, s30
	s_add_i32 s2, s3, s2
	s_mul_i32 s5, s5, s30
	s_add_i32 s2, s2, s5
	s_mul_i32 s4, s4, s30
	s_mul_hi_u32 s5, s15, s4
	s_mul_i32 s23, s15, s4
	s_mul_i32 s33, s30, s2
	s_mul_hi_u32 s4, s30, s4
	s_mul_hi_u32 s31, s30, s2
	s_add_u32 s4, s4, s33
	s_addc_u32 s31, 0, s31
	s_add_u32 s4, s4, s23
	s_mul_hi_u32 s3, s15, s2
	s_addc_u32 s4, s31, s5
	s_addc_u32 s3, s3, 0
	s_mul_i32 s2, s15, s2
	s_add_u32 s2, s4, s2
	s_addc_u32 s4, 0, s3
	s_add_u32 s5, s30, s2
	s_cselect_b64 s[2:3], -1, 0
	s_cmp_lg_u64 s[2:3], 0
	s_addc_u32 s4, s15, s4
	v_xor_b32_e32 v9, v13, v18
	v_mad_u64_u32 v[12:13], s[2:3], v17, s4, 0
	v_mul_hi_u32 v14, v17, s5
	v_lshl_add_u64 v[12:13], v[14:15], 0, v[12:13]
	v_mad_u64_u32 v[20:21], s[2:3], v9, s5, 0
	v_add_co_u32_e32 v12, vcc, v12, v20
	v_mad_u64_u32 v[14:15], s[2:3], v9, s4, 0
	s_nop 0
	v_addc_co_u32_e32 v12, vcc, v13, v21, vcc
	v_mov_b32_e32 v13, v8
	s_nop 0
	v_addc_co_u32_e32 v15, vcc, 0, v15, vcc
	v_lshl_add_u64 v[12:13], v[12:13], 0, v[14:15]
	v_mul_lo_u32 v14, s29, v12
	v_mul_lo_u32 v15, s28, v13
	v_mad_u64_u32 v[12:13], s[2:3], s28, v12, 0
	v_add3_u32 v13, v13, v15, v14
	v_sub_u32_e32 v14, v9, v13
	v_mov_b32_e32 v15, s29
	v_sub_co_u32_e32 v12, vcc, v17, v12
	s_nop 1
	v_subb_co_u32_e64 v14, s[2:3], v14, v15, vcc
	v_subrev_co_u32_e64 v17, s[2:3], s28, v12
	v_subb_co_u32_e32 v9, vcc, v9, v13, vcc
	s_nop 0
	v_subbrev_co_u32_e64 v19, s[4:5], 0, v14, s[2:3]
	v_cmp_le_u32_e64 s[4:5], s29, v19
	v_subb_co_u32_e64 v14, s[2:3], v14, v15, s[2:3]
	s_nop 0
	v_cndmask_b32_e64 v20, 0, -1, s[4:5]
	v_cmp_le_u32_e64 s[4:5], s28, v17
	v_subrev_co_u32_e64 v15, s[2:3], s28, v17
	s_nop 0
	v_cndmask_b32_e64 v21, 0, -1, s[4:5]
	v_cmp_eq_u32_e64 s[4:5], s29, v19
	v_subbrev_co_u32_e64 v14, s[2:3], 0, v14, s[2:3]
	s_nop 0
	v_cndmask_b32_e64 v20, v20, v21, s[4:5]
	v_cmp_le_u32_e32 vcc, s29, v9
	v_cmp_ne_u32_e64 s[2:3], 0, v20
	s_nop 0
	v_cndmask_b32_e64 v13, 0, -1, vcc
	v_cmp_le_u32_e32 vcc, s28, v12
	v_cndmask_b32_e64 v14, v19, v14, s[2:3]
	s_nop 0
	v_cndmask_b32_e64 v19, 0, -1, vcc
	v_cmp_eq_u32_e32 vcc, s29, v9
	s_nop 1
	v_cndmask_b32_e32 v13, v13, v19, vcc
	v_cmp_ne_u32_e32 vcc, 0, v13
	v_cndmask_b32_e64 v13, v17, v15, s[2:3]
	s_nop 0
	v_cndmask_b32_e32 v12, v12, v13, vcc
	v_cndmask_b32_e32 v9, v9, v14, vcc
	v_xor_b32_e32 v12, v12, v18
	v_xor_b32_e32 v9, v9, v18
	v_sub_co_u32_e32 v14, vcc, v12, v18
                                        ; implicit-def: $vgpr12_vgpr13
	s_nop 1
	v_subb_co_u32_e32 v15, vcc, v9, v18, vcc
.LBB32_62:                              ;   in Loop: Header=BB32_55 Depth=1
	s_andn2_saveexec_b64 s[2:3], s[26:27]
	s_cbranch_execz .LBB32_53
; %bb.63:                               ;   in Loop: Header=BB32_55 Depth=1
	v_cvt_f32_u32_e32 v9, s20
	s_sub_i32 s4, 0, s20
	v_mov_b32_e32 v15, v8
	v_rcp_iflag_f32_e32 v9, v9
	s_nop 0
	v_mul_f32_e32 v9, 0x4f7ffffe, v9
	v_cvt_u32_f32_e32 v9, v9
	v_mul_lo_u32 v13, s4, v9
	v_mul_hi_u32 v13, v9, v13
	v_add_u32_e32 v9, v9, v13
	v_mul_hi_u32 v9, v12, v9
	v_mul_lo_u32 v9, v9, s20
	v_sub_u32_e32 v9, v12, v9
	v_subrev_u32_e32 v12, s20, v9
	v_cmp_le_u32_e32 vcc, s20, v9
	s_nop 1
	v_cndmask_b32_e32 v9, v9, v12, vcc
	v_subrev_u32_e32 v12, s20, v9
	v_cmp_le_u32_e32 vcc, s20, v9
	s_nop 1
	v_cndmask_b32_e32 v14, v9, v12, vcc
	s_branch .LBB32_53
.LBB32_64:
	s_endpgm
	.section	.rodata,"a",@progbits
	.p2align	6, 0x0
	.amdhsa_kernel _ZN2at6native12_GLOBAL__N_121reflection_pad1d_flatIsEEvPKT_PS3_lllll
		.amdhsa_group_segment_fixed_size 0
		.amdhsa_private_segment_fixed_size 0
		.amdhsa_kernarg_size 312
		.amdhsa_user_sgpr_count 2
		.amdhsa_user_sgpr_dispatch_ptr 0
		.amdhsa_user_sgpr_queue_ptr 0
		.amdhsa_user_sgpr_kernarg_segment_ptr 1
		.amdhsa_user_sgpr_dispatch_id 0
		.amdhsa_user_sgpr_kernarg_preload_length 0
		.amdhsa_user_sgpr_kernarg_preload_offset 0
		.amdhsa_user_sgpr_private_segment_size 0
		.amdhsa_uses_dynamic_stack 0
		.amdhsa_enable_private_segment 0
		.amdhsa_system_sgpr_workgroup_id_x 1
		.amdhsa_system_sgpr_workgroup_id_y 0
		.amdhsa_system_sgpr_workgroup_id_z 0
		.amdhsa_system_sgpr_workgroup_info 0
		.amdhsa_system_vgpr_workitem_id 0
		.amdhsa_next_free_vgpr 52
		.amdhsa_next_free_sgpr 73
		.amdhsa_accum_offset 52
		.amdhsa_reserve_vcc 1
		.amdhsa_float_round_mode_32 0
		.amdhsa_float_round_mode_16_64 0
		.amdhsa_float_denorm_mode_32 3
		.amdhsa_float_denorm_mode_16_64 3
		.amdhsa_dx10_clamp 1
		.amdhsa_ieee_mode 1
		.amdhsa_fp16_overflow 0
		.amdhsa_tg_split 0
		.amdhsa_exception_fp_ieee_invalid_op 0
		.amdhsa_exception_fp_denorm_src 0
		.amdhsa_exception_fp_ieee_div_zero 0
		.amdhsa_exception_fp_ieee_overflow 0
		.amdhsa_exception_fp_ieee_underflow 0
		.amdhsa_exception_fp_ieee_inexact 0
		.amdhsa_exception_int_div_zero 0
	.end_amdhsa_kernel
	.section	.text._ZN2at6native12_GLOBAL__N_121reflection_pad1d_flatIsEEvPKT_PS3_lllll,"axG",@progbits,_ZN2at6native12_GLOBAL__N_121reflection_pad1d_flatIsEEvPKT_PS3_lllll,comdat
.Lfunc_end32:
	.size	_ZN2at6native12_GLOBAL__N_121reflection_pad1d_flatIsEEvPKT_PS3_lllll, .Lfunc_end32-_ZN2at6native12_GLOBAL__N_121reflection_pad1d_flatIsEEvPKT_PS3_lllll
                                        ; -- End function
	.set _ZN2at6native12_GLOBAL__N_121reflection_pad1d_flatIsEEvPKT_PS3_lllll.num_vgpr, 52
	.set _ZN2at6native12_GLOBAL__N_121reflection_pad1d_flatIsEEvPKT_PS3_lllll.num_agpr, 0
	.set _ZN2at6native12_GLOBAL__N_121reflection_pad1d_flatIsEEvPKT_PS3_lllll.numbered_sgpr, 73
	.set _ZN2at6native12_GLOBAL__N_121reflection_pad1d_flatIsEEvPKT_PS3_lllll.num_named_barrier, 0
	.set _ZN2at6native12_GLOBAL__N_121reflection_pad1d_flatIsEEvPKT_PS3_lllll.private_seg_size, 0
	.set _ZN2at6native12_GLOBAL__N_121reflection_pad1d_flatIsEEvPKT_PS3_lllll.uses_vcc, 1
	.set _ZN2at6native12_GLOBAL__N_121reflection_pad1d_flatIsEEvPKT_PS3_lllll.uses_flat_scratch, 0
	.set _ZN2at6native12_GLOBAL__N_121reflection_pad1d_flatIsEEvPKT_PS3_lllll.has_dyn_sized_stack, 0
	.set _ZN2at6native12_GLOBAL__N_121reflection_pad1d_flatIsEEvPKT_PS3_lllll.has_recursion, 0
	.set _ZN2at6native12_GLOBAL__N_121reflection_pad1d_flatIsEEvPKT_PS3_lllll.has_indirect_call, 0
	.section	.AMDGPU.csdata,"",@progbits
; Kernel info:
; codeLenInByte = 10416
; TotalNumSgprs: 79
; NumVgprs: 52
; NumAgprs: 0
; TotalNumVgprs: 52
; ScratchSize: 0
; MemoryBound: 0
; FloatMode: 240
; IeeeMode: 1
; LDSByteSize: 0 bytes/workgroup (compile time only)
; SGPRBlocks: 9
; VGPRBlocks: 6
; NumSGPRsForWavesPerEU: 79
; NumVGPRsForWavesPerEU: 52
; AccumOffset: 52
; Occupancy: 8
; WaveLimiterHint : 0
; COMPUTE_PGM_RSRC2:SCRATCH_EN: 0
; COMPUTE_PGM_RSRC2:USER_SGPR: 2
; COMPUTE_PGM_RSRC2:TRAP_HANDLER: 0
; COMPUTE_PGM_RSRC2:TGID_X_EN: 1
; COMPUTE_PGM_RSRC2:TGID_Y_EN: 0
; COMPUTE_PGM_RSRC2:TGID_Z_EN: 0
; COMPUTE_PGM_RSRC2:TIDIG_COMP_CNT: 0
; COMPUTE_PGM_RSRC3_GFX90A:ACCUM_OFFSET: 12
; COMPUTE_PGM_RSRC3_GFX90A:TG_SPLIT: 0
	.section	.text._ZN2at6native12_GLOBAL__N_127reflection_pad1d_out_kernelIdEEvPKT_PS3_lll,"axG",@progbits,_ZN2at6native12_GLOBAL__N_127reflection_pad1d_out_kernelIdEEvPKT_PS3_lll,comdat
	.globl	_ZN2at6native12_GLOBAL__N_127reflection_pad1d_out_kernelIdEEvPKT_PS3_lll ; -- Begin function _ZN2at6native12_GLOBAL__N_127reflection_pad1d_out_kernelIdEEvPKT_PS3_lll
	.p2align	8
	.type	_ZN2at6native12_GLOBAL__N_127reflection_pad1d_out_kernelIdEEvPKT_PS3_lll,@function
_ZN2at6native12_GLOBAL__N_127reflection_pad1d_out_kernelIdEEvPKT_PS3_lll: ; @_ZN2at6native12_GLOBAL__N_127reflection_pad1d_out_kernelIdEEvPKT_PS3_lll
; %bb.0:
	s_load_dword s5, s[0:1], 0x34
	s_load_dwordx2 s[16:17], s[0:1], 0x20
	s_load_dwordx8 s[8:15], s[0:1], 0x0
	s_add_u32 s6, s0, 40
	s_addc_u32 s7, s1, 0
	s_waitcnt lgkmcnt(0)
	s_and_b32 s0, s5, 0xffff
	v_mov_b32_e32 v1, 0
	v_mov_b32_e32 v2, s2
	s_add_u32 s2, s14, s12
	v_mad_u64_u32 v[0:1], s[0:1], s0, v2, v[0:1]
	s_addc_u32 s5, s15, s13
	s_add_u32 s0, s2, s16
	s_addc_u32 s1, s5, s17
	v_cmp_gt_i64_e32 vcc, s[0:1], v[0:1]
	s_and_saveexec_b64 s[16:17], vcc
	s_cbranch_execz .LBB33_2
; %bb.1:
	s_load_dword s16, s[6:7], 0x4
	s_sub_u32 s6, 0, s14
	v_mov_b32_e32 v4, s15
	v_subrev_co_u32_e32 v5, vcc, s14, v0
	s_waitcnt lgkmcnt(0)
	s_mul_i32 s4, s16, s4
	s_subb_u32 s7, 0, s15
	s_add_i32 s4, s4, s3
	v_subb_co_u32_e32 v4, vcc, v1, v4, vcc
	v_mov_b32_e32 v2, s8
	s_mul_i32 s3, s13, s4
	s_mul_hi_u32 s8, s12, s4
	v_ashrrev_i32_e32 v6, 31, v4
	v_mov_b32_e32 v3, s9
	s_add_i32 s9, s8, s3
	s_mul_i32 s1, s1, s4
	s_mul_hi_u32 s3, s0, s4
	v_xor_b32_e32 v7, v4, v6
	v_xor_b32_e32 v4, v5, v6
	s_mul_i32 s8, s12, s4
	s_add_i32 s1, s3, s1
	v_cmp_gt_i64_e64 s[12:13], s[6:7], 0
	v_sub_co_u32_e32 v4, vcc, v4, v6
	s_and_b64 s[12:13], s[12:13], exec
	s_nop 0
	v_subb_co_u32_e32 v5, vcc, v7, v6, vcc
	s_cselect_b32 s12, s7, 0
	s_cselect_b32 s13, s6, 0
	v_cmp_gt_i64_e64 s[6:7], s[14:15], 0
	v_mov_b32_e32 v7, s5
	v_subrev_co_u32_e32 v6, vcc, s2, v0
	s_and_b64 s[6:7], s[6:7], exec
	s_nop 0
	v_subb_co_u32_e32 v7, vcc, v1, v7, vcc
	s_cselect_b32 s7, s15, 0
	s_cselect_b32 s6, s14, 0
	v_lshl_add_u64 v[6:7], v[6:7], 0, 1
	s_add_u32 s14, s2, s14
	v_ashrrev_i32_e32 v8, 31, v7
	s_addc_u32 s5, s5, s15
	s_not_b64 s[2:3], s[6:7]
	v_xor_b32_e32 v6, v6, v8
	s_add_u32 s2, s14, s2
	v_xor_b32_e32 v7, v7, v8
	v_sub_co_u32_e32 v6, vcc, v6, v8
	s_addc_u32 s3, s5, s3
	s_nop 0
	v_subb_co_u32_e32 v7, vcc, v7, v8, vcc
	s_add_u32 s2, s2, s13
	v_lshl_add_u64 v[6:7], v[0:1], 0, v[6:7]
	s_addc_u32 s3, s3, s12
	v_mov_b32_e32 v8, s3
	v_sub_co_u32_e32 v6, vcc, s2, v6
	s_mul_i32 s0, s0, s4
	s_nop 0
	v_subb_co_u32_e32 v7, vcc, v8, v7, vcc
	v_lshl_add_u64 v[2:3], v[6:7], 3, v[2:3]
	v_lshl_add_u64 v[2:3], v[4:5], 3, v[2:3]
	;; [unrolled: 1-line block ×3, first 2 shown]
	global_load_dwordx2 v[2:3], v[2:3], off
	s_lshl_b64 s[0:1], s[0:1], 3
	s_add_u32 s0, s10, s0
	s_addc_u32 s1, s11, s1
	v_lshl_add_u64 v[0:1], v[0:1], 3, s[0:1]
	s_waitcnt vmcnt(0)
	global_store_dwordx2 v[0:1], v[2:3], off
.LBB33_2:
	s_endpgm
	.section	.rodata,"a",@progbits
	.p2align	6, 0x0
	.amdhsa_kernel _ZN2at6native12_GLOBAL__N_127reflection_pad1d_out_kernelIdEEvPKT_PS3_lll
		.amdhsa_group_segment_fixed_size 0
		.amdhsa_private_segment_fixed_size 0
		.amdhsa_kernarg_size 296
		.amdhsa_user_sgpr_count 2
		.amdhsa_user_sgpr_dispatch_ptr 0
		.amdhsa_user_sgpr_queue_ptr 0
		.amdhsa_user_sgpr_kernarg_segment_ptr 1
		.amdhsa_user_sgpr_dispatch_id 0
		.amdhsa_user_sgpr_kernarg_preload_length 0
		.amdhsa_user_sgpr_kernarg_preload_offset 0
		.amdhsa_user_sgpr_private_segment_size 0
		.amdhsa_uses_dynamic_stack 0
		.amdhsa_enable_private_segment 0
		.amdhsa_system_sgpr_workgroup_id_x 1
		.amdhsa_system_sgpr_workgroup_id_y 1
		.amdhsa_system_sgpr_workgroup_id_z 1
		.amdhsa_system_sgpr_workgroup_info 0
		.amdhsa_system_vgpr_workitem_id 0
		.amdhsa_next_free_vgpr 9
		.amdhsa_next_free_sgpr 18
		.amdhsa_accum_offset 12
		.amdhsa_reserve_vcc 1
		.amdhsa_float_round_mode_32 0
		.amdhsa_float_round_mode_16_64 0
		.amdhsa_float_denorm_mode_32 3
		.amdhsa_float_denorm_mode_16_64 3
		.amdhsa_dx10_clamp 1
		.amdhsa_ieee_mode 1
		.amdhsa_fp16_overflow 0
		.amdhsa_tg_split 0
		.amdhsa_exception_fp_ieee_invalid_op 0
		.amdhsa_exception_fp_denorm_src 0
		.amdhsa_exception_fp_ieee_div_zero 0
		.amdhsa_exception_fp_ieee_overflow 0
		.amdhsa_exception_fp_ieee_underflow 0
		.amdhsa_exception_fp_ieee_inexact 0
		.amdhsa_exception_int_div_zero 0
	.end_amdhsa_kernel
	.section	.text._ZN2at6native12_GLOBAL__N_127reflection_pad1d_out_kernelIdEEvPKT_PS3_lll,"axG",@progbits,_ZN2at6native12_GLOBAL__N_127reflection_pad1d_out_kernelIdEEvPKT_PS3_lll,comdat
.Lfunc_end33:
	.size	_ZN2at6native12_GLOBAL__N_127reflection_pad1d_out_kernelIdEEvPKT_PS3_lll, .Lfunc_end33-_ZN2at6native12_GLOBAL__N_127reflection_pad1d_out_kernelIdEEvPKT_PS3_lll
                                        ; -- End function
	.set _ZN2at6native12_GLOBAL__N_127reflection_pad1d_out_kernelIdEEvPKT_PS3_lll.num_vgpr, 9
	.set _ZN2at6native12_GLOBAL__N_127reflection_pad1d_out_kernelIdEEvPKT_PS3_lll.num_agpr, 0
	.set _ZN2at6native12_GLOBAL__N_127reflection_pad1d_out_kernelIdEEvPKT_PS3_lll.numbered_sgpr, 18
	.set _ZN2at6native12_GLOBAL__N_127reflection_pad1d_out_kernelIdEEvPKT_PS3_lll.num_named_barrier, 0
	.set _ZN2at6native12_GLOBAL__N_127reflection_pad1d_out_kernelIdEEvPKT_PS3_lll.private_seg_size, 0
	.set _ZN2at6native12_GLOBAL__N_127reflection_pad1d_out_kernelIdEEvPKT_PS3_lll.uses_vcc, 1
	.set _ZN2at6native12_GLOBAL__N_127reflection_pad1d_out_kernelIdEEvPKT_PS3_lll.uses_flat_scratch, 0
	.set _ZN2at6native12_GLOBAL__N_127reflection_pad1d_out_kernelIdEEvPKT_PS3_lll.has_dyn_sized_stack, 0
	.set _ZN2at6native12_GLOBAL__N_127reflection_pad1d_out_kernelIdEEvPKT_PS3_lll.has_recursion, 0
	.set _ZN2at6native12_GLOBAL__N_127reflection_pad1d_out_kernelIdEEvPKT_PS3_lll.has_indirect_call, 0
	.section	.AMDGPU.csdata,"",@progbits
; Kernel info:
; codeLenInByte = 400
; TotalNumSgprs: 24
; NumVgprs: 9
; NumAgprs: 0
; TotalNumVgprs: 9
; ScratchSize: 0
; MemoryBound: 0
; FloatMode: 240
; IeeeMode: 1
; LDSByteSize: 0 bytes/workgroup (compile time only)
; SGPRBlocks: 2
; VGPRBlocks: 1
; NumSGPRsForWavesPerEU: 24
; NumVGPRsForWavesPerEU: 9
; AccumOffset: 12
; Occupancy: 8
; WaveLimiterHint : 0
; COMPUTE_PGM_RSRC2:SCRATCH_EN: 0
; COMPUTE_PGM_RSRC2:USER_SGPR: 2
; COMPUTE_PGM_RSRC2:TRAP_HANDLER: 0
; COMPUTE_PGM_RSRC2:TGID_X_EN: 1
; COMPUTE_PGM_RSRC2:TGID_Y_EN: 1
; COMPUTE_PGM_RSRC2:TGID_Z_EN: 1
; COMPUTE_PGM_RSRC2:TIDIG_COMP_CNT: 0
; COMPUTE_PGM_RSRC3_GFX90A:ACCUM_OFFSET: 2
; COMPUTE_PGM_RSRC3_GFX90A:TG_SPLIT: 0
	.section	.text._ZN2at6native12_GLOBAL__N_121reflection_pad1d_flatIdEEvPKT_PS3_lllll,"axG",@progbits,_ZN2at6native12_GLOBAL__N_121reflection_pad1d_flatIdEEvPKT_PS3_lllll,comdat
	.globl	_ZN2at6native12_GLOBAL__N_121reflection_pad1d_flatIdEEvPKT_PS3_lllll ; -- Begin function _ZN2at6native12_GLOBAL__N_121reflection_pad1d_flatIdEEvPKT_PS3_lllll
	.p2align	8
	.type	_ZN2at6native12_GLOBAL__N_121reflection_pad1d_flatIdEEvPKT_PS3_lllll,@function
_ZN2at6native12_GLOBAL__N_121reflection_pad1d_flatIdEEvPKT_PS3_lllll: ; @_ZN2at6native12_GLOBAL__N_121reflection_pad1d_flatIdEEvPKT_PS3_lllll
; %bb.0:
	s_load_dword s3, s[0:1], 0x44
	s_load_dwordx4 s[12:15], s[0:1], 0x28
	s_add_u32 s16, s0, 56
	v_mov_b32_e32 v2, 0
	s_addc_u32 s17, s1, 0
	s_waitcnt lgkmcnt(0)
	s_and_b32 s3, s3, 0xffff
	s_mul_i32 s4, s14, s13
	s_mul_hi_u32 s5, s14, s12
	v_mov_b32_e32 v1, v2
	s_add_i32 s4, s5, s4
	s_mul_i32 s5, s15, s12
	v_mov_b32_e32 v3, s2
	s_add_i32 s15, s4, s5
	s_mul_i32 s14, s14, s12
	v_mad_u64_u32 v[0:1], s[4:5], s3, v3, v[0:1]
	v_cmp_gt_i64_e32 vcc, s[14:15], v[0:1]
	s_and_saveexec_b64 s[4:5], vcc
	s_cbranch_execz .LBB34_13
; %bb.1:
	v_cvt_f32_u32_e32 v3, s12
	s_load_dword s2, s[16:17], 0x0
	s_load_dwordx8 s[4:11], s[0:1], 0x0
	s_mov_b64 s[16:17], 0
	v_rcp_iflag_f32_e32 v3, v3
	s_waitcnt lgkmcnt(0)
	s_mul_hi_u32 s19, s3, s2
	s_lshl_b64 s[0:1], s[8:9], 1
	s_add_u32 s20, s0, -2
	s_addc_u32 s21, s1, -1
	v_mul_f32_e32 v3, 0x4f7ffffe, v3
	s_sub_u32 s30, 0, s12
	v_cvt_u32_f32_e32 v12, v3
	s_subb_u32 s31, 0, s13
	s_mul_i32 s18, s3, s2
	s_sub_u32 s10, 0, s10
	s_subb_u32 s11, 0, s11
	v_lshl_add_u64 v[4:5], v[0:1], 3, s[6:7]
	s_lshl_b64 s[6:7], s[18:19], 3
	s_ashr_i32 s22, s13, 31
	v_cmp_gt_i64_e64 s[24:25], s[20:21], 0
	s_branch .LBB34_4
.LBB34_2:                               ;   in Loop: Header=BB34_4 Depth=1
	s_or_b64 exec, exec, s[0:1]
	v_ashrrev_i32_e32 v3, 31, v11
	v_and_b32_e32 v9, s21, v3
	v_and_b32_e32 v8, s20, v3
	v_lshl_add_u64 v[8:9], v[8:9], 0, v[10:11]
	v_mov_b32_e32 v3, s21
	v_sub_co_u32_e32 v10, vcc, s20, v8
	s_nop 1
	v_subb_co_u32_e32 v3, vcc, v3, v9, vcc
	v_cmp_gt_i64_e32 vcc, s[8:9], v[8:9]
	s_nop 1
	v_cndmask_b32_e32 v9, v3, v9, vcc
	v_cndmask_b32_e32 v8, v10, v8, vcc
.LBB34_3:                               ;   in Loop: Header=BB34_4 Depth=1
	v_mul_lo_u32 v3, v7, s8
	v_mul_lo_u32 v10, v6, s9
	v_mad_u64_u32 v[6:7], s[0:1], v6, s8, 0
	v_add3_u32 v7, v7, v10, v3
	v_lshl_add_u64 v[6:7], v[6:7], 3, s[4:5]
	v_lshl_add_u64 v[6:7], v[8:9], 3, v[6:7]
	global_load_dwordx2 v[6:7], v[6:7], off
	v_lshl_add_u64 v[0:1], v[0:1], 0, s[18:19]
	v_cmp_le_i64_e32 vcc, s[14:15], v[0:1]
	s_or_b64 s[16:17], vcc, s[16:17]
	s_waitcnt vmcnt(0)
	global_store_dwordx2 v[4:5], v[6:7], off
	v_lshl_add_u64 v[4:5], v[4:5], 0, s[6:7]
	s_andn2_b64 exec, exec, s[16:17]
	s_cbranch_execz .LBB34_13
.LBB34_4:                               ; =>This Inner Loop Header: Depth=1
	v_or_b32_e32 v3, s13, v1
	v_cmp_ne_u64_e32 vcc, 0, v[2:3]
                                        ; implicit-def: $vgpr6_vgpr7
	s_and_saveexec_b64 s[0:1], vcc
	s_xor_b64 s[2:3], exec, s[0:1]
	s_cbranch_execnz .LBB34_7
; %bb.5:                                ;   in Loop: Header=BB34_4 Depth=1
	s_andn2_saveexec_b64 s[0:1], s[2:3]
	s_cbranch_execnz .LBB34_8
.LBB34_6:                               ;   in Loop: Header=BB34_4 Depth=1
	s_or_b64 exec, exec, s[0:1]
	s_andn2_b64 vcc, exec, s[24:25]
	v_mov_b64_e32 v[8:9], 0
	s_cbranch_vccnz .LBB34_3
	s_branch .LBB34_9
.LBB34_7:                               ;   in Loop: Header=BB34_4 Depth=1
	s_add_u32 s0, s12, s22
	s_mov_b32 s23, s22
	s_addc_u32 s1, s13, s22
	s_xor_b64 s[26:27], s[0:1], s[22:23]
	v_cvt_f32_u32_e32 v3, s26
	v_cvt_f32_u32_e32 v6, s27
	s_sub_u32 s23, 0, s26
	s_subb_u32 s28, 0, s27
	v_mov_b32_e32 v11, v2
	v_fmac_f32_e32 v3, 0x4f800000, v6
	v_rcp_f32_e32 v3, v3
	s_nop 0
	v_mul_f32_e32 v3, 0x5f7ffffc, v3
	v_mul_f32_e32 v6, 0x2f800000, v3
	v_trunc_f32_e32 v6, v6
	v_fmac_f32_e32 v3, 0xcf800000, v6
	v_cvt_u32_f32_e32 v6, v6
	v_cvt_u32_f32_e32 v3, v3
	v_readfirstlane_b32 s29, v6
	v_readfirstlane_b32 s0, v3
	s_mul_i32 s1, s23, s29
	s_mul_hi_u32 s34, s23, s0
	s_mul_i32 s33, s28, s0
	s_add_i32 s1, s34, s1
	s_add_i32 s1, s1, s33
	s_mul_i32 s35, s23, s0
	s_mul_i32 s34, s0, s1
	s_mul_hi_u32 s36, s0, s35
	s_mul_hi_u32 s33, s0, s1
	s_add_u32 s34, s36, s34
	s_addc_u32 s33, 0, s33
	s_mul_hi_u32 s37, s29, s35
	s_mul_i32 s35, s29, s35
	s_add_u32 s34, s34, s35
	s_mul_hi_u32 s36, s29, s1
	s_addc_u32 s33, s33, s37
	s_addc_u32 s34, s36, 0
	s_mul_i32 s1, s29, s1
	s_add_u32 s1, s33, s1
	s_addc_u32 s33, 0, s34
	s_add_u32 s34, s0, s1
	s_cselect_b64 s[0:1], -1, 0
	s_cmp_lg_u64 s[0:1], 0
	s_addc_u32 s29, s29, s33
	s_mul_i32 s0, s23, s29
	s_mul_hi_u32 s1, s23, s34
	s_add_i32 s0, s1, s0
	s_mul_i32 s28, s28, s34
	s_add_i32 s0, s0, s28
	s_mul_i32 s23, s23, s34
	s_mul_hi_u32 s28, s29, s23
	s_mul_i32 s33, s29, s23
	s_mul_i32 s36, s34, s0
	s_mul_hi_u32 s23, s34, s23
	s_mul_hi_u32 s35, s34, s0
	s_add_u32 s23, s23, s36
	s_addc_u32 s35, 0, s35
	s_add_u32 s23, s23, s33
	s_mul_hi_u32 s1, s29, s0
	s_addc_u32 s23, s35, s28
	s_addc_u32 s1, s1, 0
	s_mul_i32 s0, s29, s0
	s_add_u32 s0, s23, s0
	s_addc_u32 s23, 0, s1
	s_add_u32 s28, s34, s0
	v_ashrrev_i32_e32 v6, 31, v1
	s_cselect_b64 s[0:1], -1, 0
	v_mov_b32_e32 v7, v6
	s_cmp_lg_u64 s[0:1], 0
	v_lshl_add_u64 v[8:9], v[0:1], 0, v[6:7]
	s_addc_u32 s23, s29, s23
	v_xor_b32_e32 v7, v8, v6
	v_xor_b32_e32 v3, v9, v6
	v_mad_u64_u32 v[8:9], s[0:1], v7, s23, 0
	v_mul_hi_u32 v10, v7, s28
	v_lshl_add_u64 v[8:9], v[10:11], 0, v[8:9]
	v_mad_u64_u32 v[14:15], s[0:1], v3, s28, 0
	v_add_co_u32_e32 v8, vcc, v8, v14
	v_mad_u64_u32 v[10:11], s[0:1], v3, s23, 0
	s_nop 0
	v_addc_co_u32_e32 v8, vcc, v9, v15, vcc
	v_mov_b32_e32 v9, v2
	s_nop 0
	v_addc_co_u32_e32 v11, vcc, 0, v11, vcc
	v_lshl_add_u64 v[8:9], v[8:9], 0, v[10:11]
	v_mul_lo_u32 v13, s27, v8
	v_mul_lo_u32 v14, s26, v9
	v_mad_u64_u32 v[10:11], s[0:1], s26, v8, 0
	v_add3_u32 v13, v11, v14, v13
	v_sub_u32_e32 v11, v3, v13
	v_mov_b32_e32 v14, s27
	v_sub_co_u32_e32 v7, vcc, v7, v10
	s_nop 1
	v_subb_co_u32_e64 v10, s[0:1], v11, v14, vcc
	v_subrev_co_u32_e64 v11, s[0:1], s26, v7
	v_subb_co_u32_e32 v3, vcc, v3, v13, vcc
	s_nop 0
	v_subbrev_co_u32_e64 v10, s[0:1], 0, v10, s[0:1]
	v_cmp_le_u32_e64 s[0:1], s27, v10
	v_cmp_le_u32_e32 vcc, s27, v3
	s_nop 0
	v_cndmask_b32_e64 v14, 0, -1, s[0:1]
	v_cmp_le_u32_e64 s[0:1], s26, v11
	v_cndmask_b32_e64 v13, 0, -1, vcc
	v_cmp_le_u32_e32 vcc, s26, v7
	v_cndmask_b32_e64 v11, 0, -1, s[0:1]
	v_cmp_eq_u32_e64 s[0:1], s27, v10
	v_cndmask_b32_e64 v7, 0, -1, vcc
	v_cmp_eq_u32_e32 vcc, s27, v3
	v_cndmask_b32_e64 v16, v14, v11, s[0:1]
	v_lshl_add_u64 v[10:11], v[8:9], 0, 2
	v_lshl_add_u64 v[14:15], v[8:9], 0, 1
	v_cmp_ne_u32_e64 s[0:1], 0, v16
	v_cndmask_b32_e32 v3, v13, v7, vcc
	v_cmp_ne_u32_e32 vcc, 0, v3
	v_cndmask_b32_e64 v7, v14, v10, s[0:1]
	v_cndmask_b32_e64 v11, v15, v11, s[0:1]
	v_cndmask_b32_e32 v7, v8, v7, vcc
	v_xor_b32_e32 v8, s22, v6
	v_cndmask_b32_e32 v3, v9, v11, vcc
	v_xor_b32_e32 v6, v7, v8
	v_xor_b32_e32 v3, v3, v8
	v_sub_co_u32_e32 v6, vcc, v6, v8
	s_nop 1
	v_subb_co_u32_e32 v7, vcc, v3, v8, vcc
	s_andn2_saveexec_b64 s[0:1], s[2:3]
	s_cbranch_execz .LBB34_6
.LBB34_8:                               ;   in Loop: Header=BB34_4 Depth=1
	s_sub_i32 s2, 0, s12
	v_mul_lo_u32 v3, s2, v12
	v_mul_hi_u32 v3, v12, v3
	v_add_u32_e32 v3, v12, v3
	v_mul_hi_u32 v3, v0, v3
	v_mul_lo_u32 v6, v3, s12
	v_sub_u32_e32 v6, v0, v6
	v_subrev_u32_e32 v7, s12, v6
	v_cmp_le_u32_e32 vcc, s12, v6
	s_nop 1
	v_cndmask_b32_e32 v6, v6, v7, vcc
	v_add_u32_e32 v7, 1, v3
	v_cndmask_b32_e32 v3, v3, v7, vcc
	v_add_u32_e32 v7, 1, v3
	v_cmp_le_u32_e32 vcc, s12, v6
	s_nop 1
	v_cndmask_b32_e32 v6, v3, v7, vcc
	v_mov_b32_e32 v7, v2
	s_or_b64 exec, exec, s[0:1]
	s_andn2_b64 vcc, exec, s[24:25]
	v_mov_b64_e32 v[8:9], 0
	s_cbranch_vccnz .LBB34_3
.LBB34_9:                               ;   in Loop: Header=BB34_4 Depth=1
	v_lshl_add_u64 v[8:9], s[10:11], 0, v[0:1]
	v_mul_lo_u32 v3, s30, v7
	v_mul_lo_u32 v10, s31, v6
	v_mad_u64_u32 v[8:9], s[0:1], s30, v6, v[8:9]
	v_add3_u32 v9, v10, v9, v3
	v_or_b32_e32 v3, s21, v9
	v_cmp_ne_u64_e32 vcc, 0, v[2:3]
                                        ; implicit-def: $vgpr10_vgpr11
	s_and_saveexec_b64 s[0:1], vcc
	s_xor_b64 s[26:27], exec, s[0:1]
	s_cbranch_execz .LBB34_11
; %bb.10:                               ;   in Loop: Header=BB34_4 Depth=1
	s_ashr_i32 s0, s21, 31
	s_add_u32 s2, s20, s0
	s_mov_b32 s1, s0
	s_addc_u32 s3, s21, s0
	s_xor_b64 s[28:29], s[2:3], s[0:1]
	v_cvt_f32_u32_e32 v3, s28
	v_cvt_f32_u32_e32 v10, s29
	s_sub_u32 s2, 0, s28
	s_subb_u32 s3, 0, s29
	v_ashrrev_i32_e32 v14, 31, v9
	v_fmac_f32_e32 v3, 0x4f800000, v10
	v_rcp_f32_e32 v3, v3
	v_mov_b32_e32 v15, v14
	v_lshl_add_u64 v[8:9], v[8:9], 0, v[14:15]
	v_xor_b32_e32 v13, v8, v14
	v_mul_f32_e32 v3, 0x5f7ffffc, v3
	v_mul_f32_e32 v10, 0x2f800000, v3
	v_trunc_f32_e32 v10, v10
	v_fmac_f32_e32 v3, 0xcf800000, v10
	v_cvt_u32_f32_e32 v10, v10
	v_cvt_u32_f32_e32 v3, v3
	v_mov_b32_e32 v11, v2
	v_readfirstlane_b32 s23, v10
	v_readfirstlane_b32 s0, v3
	s_mul_i32 s1, s2, s23
	s_mul_hi_u32 s34, s2, s0
	s_mul_i32 s33, s3, s0
	s_add_i32 s1, s34, s1
	s_add_i32 s1, s1, s33
	s_mul_i32 s35, s2, s0
	s_mul_i32 s34, s0, s1
	s_mul_hi_u32 s36, s0, s35
	s_mul_hi_u32 s33, s0, s1
	s_add_u32 s34, s36, s34
	s_addc_u32 s33, 0, s33
	s_mul_hi_u32 s37, s23, s35
	s_mul_i32 s35, s23, s35
	s_add_u32 s34, s34, s35
	s_mul_hi_u32 s36, s23, s1
	s_addc_u32 s33, s33, s37
	s_addc_u32 s34, s36, 0
	s_mul_i32 s1, s23, s1
	s_add_u32 s1, s33, s1
	s_addc_u32 s33, 0, s34
	s_add_u32 s34, s0, s1
	s_cselect_b64 s[0:1], -1, 0
	s_cmp_lg_u64 s[0:1], 0
	s_addc_u32 s23, s23, s33
	s_mul_i32 s0, s2, s23
	s_mul_hi_u32 s1, s2, s34
	s_add_i32 s0, s1, s0
	s_mul_i32 s3, s3, s34
	s_add_i32 s0, s0, s3
	s_mul_i32 s2, s2, s34
	s_mul_hi_u32 s3, s23, s2
	s_mul_i32 s33, s23, s2
	s_mul_i32 s36, s34, s0
	s_mul_hi_u32 s2, s34, s2
	s_mul_hi_u32 s35, s34, s0
	s_add_u32 s2, s2, s36
	s_addc_u32 s35, 0, s35
	s_add_u32 s2, s2, s33
	s_mul_hi_u32 s1, s23, s0
	s_addc_u32 s2, s35, s3
	s_addc_u32 s1, s1, 0
	s_mul_i32 s0, s23, s0
	s_add_u32 s0, s2, s0
	s_addc_u32 s2, 0, s1
	s_add_u32 s3, s34, s0
	s_cselect_b64 s[0:1], -1, 0
	s_cmp_lg_u64 s[0:1], 0
	s_addc_u32 s2, s23, s2
	v_xor_b32_e32 v3, v9, v14
	v_mad_u64_u32 v[8:9], s[0:1], v13, s2, 0
	v_mul_hi_u32 v10, v13, s3
	v_lshl_add_u64 v[8:9], v[10:11], 0, v[8:9]
	v_mad_u64_u32 v[16:17], s[0:1], v3, s3, 0
	v_add_co_u32_e32 v8, vcc, v8, v16
	v_mad_u64_u32 v[10:11], s[0:1], v3, s2, 0
	s_nop 0
	v_addc_co_u32_e32 v8, vcc, v9, v17, vcc
	v_mov_b32_e32 v9, v2
	s_nop 0
	v_addc_co_u32_e32 v11, vcc, 0, v11, vcc
	v_lshl_add_u64 v[8:9], v[8:9], 0, v[10:11]
	v_mul_lo_u32 v10, s29, v8
	v_mul_lo_u32 v11, s28, v9
	v_mad_u64_u32 v[8:9], s[0:1], s28, v8, 0
	v_add3_u32 v9, v9, v11, v10
	v_sub_u32_e32 v10, v3, v9
	v_mov_b32_e32 v11, s29
	v_sub_co_u32_e32 v8, vcc, v13, v8
	s_nop 1
	v_subb_co_u32_e64 v10, s[0:1], v10, v11, vcc
	v_subrev_co_u32_e64 v13, s[0:1], s28, v8
	v_subb_co_u32_e32 v3, vcc, v3, v9, vcc
	s_nop 0
	v_subbrev_co_u32_e64 v15, s[2:3], 0, v10, s[0:1]
	v_cmp_le_u32_e64 s[2:3], s29, v15
	v_subb_co_u32_e64 v10, s[0:1], v10, v11, s[0:1]
	s_nop 0
	v_cndmask_b32_e64 v16, 0, -1, s[2:3]
	v_cmp_le_u32_e64 s[2:3], s28, v13
	v_subrev_co_u32_e64 v11, s[0:1], s28, v13
	s_nop 0
	v_cndmask_b32_e64 v17, 0, -1, s[2:3]
	v_cmp_eq_u32_e64 s[2:3], s29, v15
	v_subbrev_co_u32_e64 v10, s[0:1], 0, v10, s[0:1]
	s_nop 0
	v_cndmask_b32_e64 v16, v16, v17, s[2:3]
	v_cmp_le_u32_e32 vcc, s29, v3
	v_cmp_ne_u32_e64 s[0:1], 0, v16
	s_nop 0
	v_cndmask_b32_e64 v9, 0, -1, vcc
	v_cmp_le_u32_e32 vcc, s28, v8
	v_cndmask_b32_e64 v10, v15, v10, s[0:1]
	s_nop 0
	v_cndmask_b32_e64 v15, 0, -1, vcc
	v_cmp_eq_u32_e32 vcc, s29, v3
	s_nop 1
	v_cndmask_b32_e32 v9, v9, v15, vcc
	v_cmp_ne_u32_e32 vcc, 0, v9
	v_cndmask_b32_e64 v9, v13, v11, s[0:1]
	s_nop 0
	v_cndmask_b32_e32 v8, v8, v9, vcc
	v_cndmask_b32_e32 v3, v3, v10, vcc
	v_xor_b32_e32 v8, v8, v14
	v_xor_b32_e32 v3, v3, v14
	v_sub_co_u32_e32 v10, vcc, v8, v14
                                        ; implicit-def: $vgpr8_vgpr9
	s_nop 1
	v_subb_co_u32_e32 v11, vcc, v3, v14, vcc
.LBB34_11:                              ;   in Loop: Header=BB34_4 Depth=1
	s_andn2_saveexec_b64 s[0:1], s[26:27]
	s_cbranch_execz .LBB34_2
; %bb.12:                               ;   in Loop: Header=BB34_4 Depth=1
	v_cvt_f32_u32_e32 v3, s20
	s_sub_i32 s2, 0, s20
	v_mov_b32_e32 v11, v2
	v_rcp_iflag_f32_e32 v3, v3
	s_nop 0
	v_mul_f32_e32 v3, 0x4f7ffffe, v3
	v_cvt_u32_f32_e32 v3, v3
	v_mul_lo_u32 v9, s2, v3
	v_mul_hi_u32 v9, v3, v9
	v_add_u32_e32 v3, v3, v9
	v_mul_hi_u32 v3, v8, v3
	v_mul_lo_u32 v3, v3, s20
	v_sub_u32_e32 v3, v8, v3
	v_subrev_u32_e32 v8, s20, v3
	v_cmp_le_u32_e32 vcc, s20, v3
	s_nop 1
	v_cndmask_b32_e32 v3, v3, v8, vcc
	v_subrev_u32_e32 v8, s20, v3
	v_cmp_le_u32_e32 vcc, s20, v3
	s_nop 1
	v_cndmask_b32_e32 v10, v3, v8, vcc
	s_branch .LBB34_2
.LBB34_13:
	s_endpgm
	.section	.rodata,"a",@progbits
	.p2align	6, 0x0
	.amdhsa_kernel _ZN2at6native12_GLOBAL__N_121reflection_pad1d_flatIdEEvPKT_PS3_lllll
		.amdhsa_group_segment_fixed_size 0
		.amdhsa_private_segment_fixed_size 0
		.amdhsa_kernarg_size 312
		.amdhsa_user_sgpr_count 2
		.amdhsa_user_sgpr_dispatch_ptr 0
		.amdhsa_user_sgpr_queue_ptr 0
		.amdhsa_user_sgpr_kernarg_segment_ptr 1
		.amdhsa_user_sgpr_dispatch_id 0
		.amdhsa_user_sgpr_kernarg_preload_length 0
		.amdhsa_user_sgpr_kernarg_preload_offset 0
		.amdhsa_user_sgpr_private_segment_size 0
		.amdhsa_uses_dynamic_stack 0
		.amdhsa_enable_private_segment 0
		.amdhsa_system_sgpr_workgroup_id_x 1
		.amdhsa_system_sgpr_workgroup_id_y 0
		.amdhsa_system_sgpr_workgroup_id_z 0
		.amdhsa_system_sgpr_workgroup_info 0
		.amdhsa_system_vgpr_workitem_id 0
		.amdhsa_next_free_vgpr 18
		.amdhsa_next_free_sgpr 38
		.amdhsa_accum_offset 20
		.amdhsa_reserve_vcc 1
		.amdhsa_float_round_mode_32 0
		.amdhsa_float_round_mode_16_64 0
		.amdhsa_float_denorm_mode_32 3
		.amdhsa_float_denorm_mode_16_64 3
		.amdhsa_dx10_clamp 1
		.amdhsa_ieee_mode 1
		.amdhsa_fp16_overflow 0
		.amdhsa_tg_split 0
		.amdhsa_exception_fp_ieee_invalid_op 0
		.amdhsa_exception_fp_denorm_src 0
		.amdhsa_exception_fp_ieee_div_zero 0
		.amdhsa_exception_fp_ieee_overflow 0
		.amdhsa_exception_fp_ieee_underflow 0
		.amdhsa_exception_fp_ieee_inexact 0
		.amdhsa_exception_int_div_zero 0
	.end_amdhsa_kernel
	.section	.text._ZN2at6native12_GLOBAL__N_121reflection_pad1d_flatIdEEvPKT_PS3_lllll,"axG",@progbits,_ZN2at6native12_GLOBAL__N_121reflection_pad1d_flatIdEEvPKT_PS3_lllll,comdat
.Lfunc_end34:
	.size	_ZN2at6native12_GLOBAL__N_121reflection_pad1d_flatIdEEvPKT_PS3_lllll, .Lfunc_end34-_ZN2at6native12_GLOBAL__N_121reflection_pad1d_flatIdEEvPKT_PS3_lllll
                                        ; -- End function
	.set _ZN2at6native12_GLOBAL__N_121reflection_pad1d_flatIdEEvPKT_PS3_lllll.num_vgpr, 18
	.set _ZN2at6native12_GLOBAL__N_121reflection_pad1d_flatIdEEvPKT_PS3_lllll.num_agpr, 0
	.set _ZN2at6native12_GLOBAL__N_121reflection_pad1d_flatIdEEvPKT_PS3_lllll.numbered_sgpr, 38
	.set _ZN2at6native12_GLOBAL__N_121reflection_pad1d_flatIdEEvPKT_PS3_lllll.num_named_barrier, 0
	.set _ZN2at6native12_GLOBAL__N_121reflection_pad1d_flatIdEEvPKT_PS3_lllll.private_seg_size, 0
	.set _ZN2at6native12_GLOBAL__N_121reflection_pad1d_flatIdEEvPKT_PS3_lllll.uses_vcc, 1
	.set _ZN2at6native12_GLOBAL__N_121reflection_pad1d_flatIdEEvPKT_PS3_lllll.uses_flat_scratch, 0
	.set _ZN2at6native12_GLOBAL__N_121reflection_pad1d_flatIdEEvPKT_PS3_lllll.has_dyn_sized_stack, 0
	.set _ZN2at6native12_GLOBAL__N_121reflection_pad1d_flatIdEEvPKT_PS3_lllll.has_recursion, 0
	.set _ZN2at6native12_GLOBAL__N_121reflection_pad1d_flatIdEEvPKT_PS3_lllll.has_indirect_call, 0
	.section	.AMDGPU.csdata,"",@progbits
; Kernel info:
; codeLenInByte = 1972
; TotalNumSgprs: 44
; NumVgprs: 18
; NumAgprs: 0
; TotalNumVgprs: 18
; ScratchSize: 0
; MemoryBound: 0
; FloatMode: 240
; IeeeMode: 1
; LDSByteSize: 0 bytes/workgroup (compile time only)
; SGPRBlocks: 5
; VGPRBlocks: 2
; NumSGPRsForWavesPerEU: 44
; NumVGPRsForWavesPerEU: 18
; AccumOffset: 20
; Occupancy: 8
; WaveLimiterHint : 0
; COMPUTE_PGM_RSRC2:SCRATCH_EN: 0
; COMPUTE_PGM_RSRC2:USER_SGPR: 2
; COMPUTE_PGM_RSRC2:TRAP_HANDLER: 0
; COMPUTE_PGM_RSRC2:TGID_X_EN: 1
; COMPUTE_PGM_RSRC2:TGID_Y_EN: 0
; COMPUTE_PGM_RSRC2:TGID_Z_EN: 0
; COMPUTE_PGM_RSRC2:TIDIG_COMP_CNT: 0
; COMPUTE_PGM_RSRC3_GFX90A:ACCUM_OFFSET: 4
; COMPUTE_PGM_RSRC3_GFX90A:TG_SPLIT: 0
	.section	.text._ZN2at6native12_GLOBAL__N_127reflection_pad1d_out_kernelIfEEvPKT_PS3_lll,"axG",@progbits,_ZN2at6native12_GLOBAL__N_127reflection_pad1d_out_kernelIfEEvPKT_PS3_lll,comdat
	.globl	_ZN2at6native12_GLOBAL__N_127reflection_pad1d_out_kernelIfEEvPKT_PS3_lll ; -- Begin function _ZN2at6native12_GLOBAL__N_127reflection_pad1d_out_kernelIfEEvPKT_PS3_lll
	.p2align	8
	.type	_ZN2at6native12_GLOBAL__N_127reflection_pad1d_out_kernelIfEEvPKT_PS3_lll,@function
_ZN2at6native12_GLOBAL__N_127reflection_pad1d_out_kernelIfEEvPKT_PS3_lll: ; @_ZN2at6native12_GLOBAL__N_127reflection_pad1d_out_kernelIfEEvPKT_PS3_lll
; %bb.0:
	s_load_dword s5, s[0:1], 0x34
	s_load_dwordx2 s[16:17], s[0:1], 0x20
	s_load_dwordx8 s[8:15], s[0:1], 0x0
	s_add_u32 s6, s0, 40
	s_addc_u32 s7, s1, 0
	s_waitcnt lgkmcnt(0)
	s_and_b32 s0, s5, 0xffff
	v_mov_b32_e32 v1, 0
	v_mov_b32_e32 v2, s2
	s_add_u32 s2, s14, s12
	v_mad_u64_u32 v[0:1], s[0:1], s0, v2, v[0:1]
	s_addc_u32 s5, s15, s13
	s_add_u32 s0, s2, s16
	s_addc_u32 s1, s5, s17
	v_cmp_gt_i64_e32 vcc, s[0:1], v[0:1]
	s_and_saveexec_b64 s[16:17], vcc
	s_cbranch_execz .LBB35_2
; %bb.1:
	s_load_dword s16, s[6:7], 0x4
	s_sub_u32 s6, 0, s14
	v_mov_b32_e32 v4, s15
	v_subrev_co_u32_e32 v5, vcc, s14, v0
	s_waitcnt lgkmcnt(0)
	s_mul_i32 s4, s16, s4
	s_subb_u32 s7, 0, s15
	s_add_i32 s4, s4, s3
	v_subb_co_u32_e32 v4, vcc, v1, v4, vcc
	v_mov_b32_e32 v2, s8
	s_mul_i32 s3, s13, s4
	s_mul_hi_u32 s8, s12, s4
	v_ashrrev_i32_e32 v6, 31, v4
	v_mov_b32_e32 v3, s9
	s_add_i32 s9, s8, s3
	s_mul_i32 s1, s1, s4
	s_mul_hi_u32 s3, s0, s4
	v_xor_b32_e32 v7, v4, v6
	v_xor_b32_e32 v4, v5, v6
	s_mul_i32 s8, s12, s4
	s_add_i32 s1, s3, s1
	v_cmp_gt_i64_e64 s[12:13], s[6:7], 0
	v_sub_co_u32_e32 v4, vcc, v4, v6
	s_and_b64 s[12:13], s[12:13], exec
	s_nop 0
	v_subb_co_u32_e32 v5, vcc, v7, v6, vcc
	s_cselect_b32 s12, s7, 0
	s_cselect_b32 s13, s6, 0
	v_cmp_gt_i64_e64 s[6:7], s[14:15], 0
	v_mov_b32_e32 v7, s5
	v_subrev_co_u32_e32 v6, vcc, s2, v0
	s_and_b64 s[6:7], s[6:7], exec
	s_nop 0
	v_subb_co_u32_e32 v7, vcc, v1, v7, vcc
	s_cselect_b32 s7, s15, 0
	s_cselect_b32 s6, s14, 0
	v_lshl_add_u64 v[6:7], v[6:7], 0, 1
	s_add_u32 s14, s2, s14
	v_ashrrev_i32_e32 v8, 31, v7
	s_addc_u32 s5, s5, s15
	s_not_b64 s[2:3], s[6:7]
	v_xor_b32_e32 v6, v6, v8
	s_add_u32 s2, s14, s2
	v_xor_b32_e32 v7, v7, v8
	v_sub_co_u32_e32 v6, vcc, v6, v8
	s_addc_u32 s3, s5, s3
	s_nop 0
	v_subb_co_u32_e32 v7, vcc, v7, v8, vcc
	s_add_u32 s2, s2, s13
	v_lshl_add_u64 v[6:7], v[0:1], 0, v[6:7]
	s_addc_u32 s3, s3, s12
	v_mov_b32_e32 v8, s3
	v_sub_co_u32_e32 v6, vcc, s2, v6
	s_mul_i32 s0, s0, s4
	s_nop 0
	v_subb_co_u32_e32 v7, vcc, v8, v7, vcc
	v_lshl_add_u64 v[2:3], v[6:7], 2, v[2:3]
	v_lshl_add_u64 v[2:3], v[4:5], 2, v[2:3]
	;; [unrolled: 1-line block ×3, first 2 shown]
	global_load_dword v2, v[2:3], off
	s_lshl_b64 s[0:1], s[0:1], 2
	s_add_u32 s0, s10, s0
	s_addc_u32 s1, s11, s1
	v_lshl_add_u64 v[0:1], v[0:1], 2, s[0:1]
	s_waitcnt vmcnt(0)
	global_store_dword v[0:1], v2, off
.LBB35_2:
	s_endpgm
	.section	.rodata,"a",@progbits
	.p2align	6, 0x0
	.amdhsa_kernel _ZN2at6native12_GLOBAL__N_127reflection_pad1d_out_kernelIfEEvPKT_PS3_lll
		.amdhsa_group_segment_fixed_size 0
		.amdhsa_private_segment_fixed_size 0
		.amdhsa_kernarg_size 296
		.amdhsa_user_sgpr_count 2
		.amdhsa_user_sgpr_dispatch_ptr 0
		.amdhsa_user_sgpr_queue_ptr 0
		.amdhsa_user_sgpr_kernarg_segment_ptr 1
		.amdhsa_user_sgpr_dispatch_id 0
		.amdhsa_user_sgpr_kernarg_preload_length 0
		.amdhsa_user_sgpr_kernarg_preload_offset 0
		.amdhsa_user_sgpr_private_segment_size 0
		.amdhsa_uses_dynamic_stack 0
		.amdhsa_enable_private_segment 0
		.amdhsa_system_sgpr_workgroup_id_x 1
		.amdhsa_system_sgpr_workgroup_id_y 1
		.amdhsa_system_sgpr_workgroup_id_z 1
		.amdhsa_system_sgpr_workgroup_info 0
		.amdhsa_system_vgpr_workitem_id 0
		.amdhsa_next_free_vgpr 9
		.amdhsa_next_free_sgpr 18
		.amdhsa_accum_offset 12
		.amdhsa_reserve_vcc 1
		.amdhsa_float_round_mode_32 0
		.amdhsa_float_round_mode_16_64 0
		.amdhsa_float_denorm_mode_32 3
		.amdhsa_float_denorm_mode_16_64 3
		.amdhsa_dx10_clamp 1
		.amdhsa_ieee_mode 1
		.amdhsa_fp16_overflow 0
		.amdhsa_tg_split 0
		.amdhsa_exception_fp_ieee_invalid_op 0
		.amdhsa_exception_fp_denorm_src 0
		.amdhsa_exception_fp_ieee_div_zero 0
		.amdhsa_exception_fp_ieee_overflow 0
		.amdhsa_exception_fp_ieee_underflow 0
		.amdhsa_exception_fp_ieee_inexact 0
		.amdhsa_exception_int_div_zero 0
	.end_amdhsa_kernel
	.section	.text._ZN2at6native12_GLOBAL__N_127reflection_pad1d_out_kernelIfEEvPKT_PS3_lll,"axG",@progbits,_ZN2at6native12_GLOBAL__N_127reflection_pad1d_out_kernelIfEEvPKT_PS3_lll,comdat
.Lfunc_end35:
	.size	_ZN2at6native12_GLOBAL__N_127reflection_pad1d_out_kernelIfEEvPKT_PS3_lll, .Lfunc_end35-_ZN2at6native12_GLOBAL__N_127reflection_pad1d_out_kernelIfEEvPKT_PS3_lll
                                        ; -- End function
	.set _ZN2at6native12_GLOBAL__N_127reflection_pad1d_out_kernelIfEEvPKT_PS3_lll.num_vgpr, 9
	.set _ZN2at6native12_GLOBAL__N_127reflection_pad1d_out_kernelIfEEvPKT_PS3_lll.num_agpr, 0
	.set _ZN2at6native12_GLOBAL__N_127reflection_pad1d_out_kernelIfEEvPKT_PS3_lll.numbered_sgpr, 18
	.set _ZN2at6native12_GLOBAL__N_127reflection_pad1d_out_kernelIfEEvPKT_PS3_lll.num_named_barrier, 0
	.set _ZN2at6native12_GLOBAL__N_127reflection_pad1d_out_kernelIfEEvPKT_PS3_lll.private_seg_size, 0
	.set _ZN2at6native12_GLOBAL__N_127reflection_pad1d_out_kernelIfEEvPKT_PS3_lll.uses_vcc, 1
	.set _ZN2at6native12_GLOBAL__N_127reflection_pad1d_out_kernelIfEEvPKT_PS3_lll.uses_flat_scratch, 0
	.set _ZN2at6native12_GLOBAL__N_127reflection_pad1d_out_kernelIfEEvPKT_PS3_lll.has_dyn_sized_stack, 0
	.set _ZN2at6native12_GLOBAL__N_127reflection_pad1d_out_kernelIfEEvPKT_PS3_lll.has_recursion, 0
	.set _ZN2at6native12_GLOBAL__N_127reflection_pad1d_out_kernelIfEEvPKT_PS3_lll.has_indirect_call, 0
	.section	.AMDGPU.csdata,"",@progbits
; Kernel info:
; codeLenInByte = 400
; TotalNumSgprs: 24
; NumVgprs: 9
; NumAgprs: 0
; TotalNumVgprs: 9
; ScratchSize: 0
; MemoryBound: 0
; FloatMode: 240
; IeeeMode: 1
; LDSByteSize: 0 bytes/workgroup (compile time only)
; SGPRBlocks: 2
; VGPRBlocks: 1
; NumSGPRsForWavesPerEU: 24
; NumVGPRsForWavesPerEU: 9
; AccumOffset: 12
; Occupancy: 8
; WaveLimiterHint : 0
; COMPUTE_PGM_RSRC2:SCRATCH_EN: 0
; COMPUTE_PGM_RSRC2:USER_SGPR: 2
; COMPUTE_PGM_RSRC2:TRAP_HANDLER: 0
; COMPUTE_PGM_RSRC2:TGID_X_EN: 1
; COMPUTE_PGM_RSRC2:TGID_Y_EN: 1
; COMPUTE_PGM_RSRC2:TGID_Z_EN: 1
; COMPUTE_PGM_RSRC2:TIDIG_COMP_CNT: 0
; COMPUTE_PGM_RSRC3_GFX90A:ACCUM_OFFSET: 2
; COMPUTE_PGM_RSRC3_GFX90A:TG_SPLIT: 0
	.section	.text._ZN2at6native12_GLOBAL__N_121reflection_pad1d_flatIfEEvPKT_PS3_lllll,"axG",@progbits,_ZN2at6native12_GLOBAL__N_121reflection_pad1d_flatIfEEvPKT_PS3_lllll,comdat
	.globl	_ZN2at6native12_GLOBAL__N_121reflection_pad1d_flatIfEEvPKT_PS3_lllll ; -- Begin function _ZN2at6native12_GLOBAL__N_121reflection_pad1d_flatIfEEvPKT_PS3_lllll
	.p2align	8
	.type	_ZN2at6native12_GLOBAL__N_121reflection_pad1d_flatIfEEvPKT_PS3_lllll,@function
_ZN2at6native12_GLOBAL__N_121reflection_pad1d_flatIfEEvPKT_PS3_lllll: ; @_ZN2at6native12_GLOBAL__N_121reflection_pad1d_flatIfEEvPKT_PS3_lllll
; %bb.0:
	s_load_dword s3, s[0:1], 0x44
	s_load_dwordx4 s[8:11], s[0:1], 0x28
	s_add_u32 s4, s0, 56
	s_addc_u32 s5, s1, 0
	v_mov_b32_e32 v1, 0
	s_waitcnt lgkmcnt(0)
	s_and_b32 s3, s3, 0xffff
	s_mul_i32 s6, s10, s9
	s_mul_hi_u32 s7, s10, s8
	s_add_i32 s6, s7, s6
	s_mul_i32 s7, s11, s8
	v_mov_b32_e32 v2, s2
	s_add_i32 s7, s6, s7
	s_mul_i32 s6, s10, s8
	v_mad_u64_u32 v[2:3], s[10:11], s3, v2, v[0:1]
	v_cmp_gt_i64_e32 vcc, s[6:7], v[2:3]
	s_and_saveexec_b64 s[10:11], vcc
	s_cbranch_execz .LBB36_44
; %bb.1:
	s_load_dword s4, s[4:5], 0x0
	v_mov_b32_e32 v4, s3
	s_mov_b32 s12, 0
	v_mov_b32_e32 v5, s12
	s_waitcnt lgkmcnt(0)
	s_add_u32 s30, s2, s4
	s_addc_u32 s31, 0, 0
	s_mul_hi_u32 s11, s3, s4
	s_mul_i32 s10, s3, s4
	s_mul_i32 s31, s31, s3
	v_mad_u64_u32 v[6:7], s[4:5], s30, v4, v[0:1]
	v_add_u32_e32 v7, s31, v7
	v_mov_b32_e32 v4, s7
	v_cmp_gt_i64_e32 vcc, s[6:7], v[6:7]
	s_nop 1
	v_cndmask_b32_e32 v9, v7, v4, vcc
	v_mov_b32_e32 v4, s6
	v_cndmask_b32_e32 v8, v6, v4, vcc
	v_cndmask_b32_e64 v4, 0, 1, vcc
	v_lshl_add_u64 v[6:7], v[6:7], 0, v[4:5]
	v_sub_co_u32_e32 v8, vcc, v8, v6
	v_mov_b32_e32 v6, v1
	s_nop 0
	v_subb_co_u32_e32 v9, vcc, v9, v7, vcc
	v_or_b32_e32 v7, s11, v9
	v_cmp_ne_u64_e32 vcc, 0, v[6:7]
                                        ; implicit-def: $vgpr6_vgpr7
	s_and_saveexec_b64 s[4:5], vcc
	s_xor_b64 s[12:13], exec, s[4:5]
	s_cbranch_execz .LBB36_3
; %bb.2:
	v_cvt_f32_u32_e32 v1, s10
	v_cvt_f32_u32_e32 v6, s11
	s_sub_u32 s14, 0, s10
	s_subb_u32 s15, 0, s11
	v_mov_b32_e32 v11, 0
	v_fmamk_f32 v1, v6, 0x4f800000, v1
	v_rcp_f32_e32 v1, v1
	s_nop 0
	v_mul_f32_e32 v1, 0x5f7ffffc, v1
	v_mul_f32_e32 v6, 0x2f800000, v1
	v_trunc_f32_e32 v6, v6
	v_fmamk_f32 v1, v6, 0xcf800000, v1
	v_cvt_u32_f32_e32 v6, v6
	v_cvt_u32_f32_e32 v1, v1
	v_readfirstlane_b32 s16, v6
	v_readfirstlane_b32 s4, v1
	s_mul_i32 s5, s14, s16
	s_mul_hi_u32 s18, s14, s4
	s_mul_i32 s17, s15, s4
	s_add_i32 s5, s18, s5
	s_mul_i32 s19, s14, s4
	s_add_i32 s5, s5, s17
	s_mul_i32 s18, s4, s5
	s_mul_hi_u32 s20, s4, s19
	s_mul_hi_u32 s17, s4, s5
	s_add_u32 s18, s20, s18
	s_addc_u32 s17, 0, s17
	s_mul_hi_u32 s21, s16, s19
	s_mul_i32 s19, s16, s19
	s_add_u32 s18, s18, s19
	s_mul_hi_u32 s20, s16, s5
	s_addc_u32 s17, s17, s21
	s_addc_u32 s18, s20, 0
	s_mul_i32 s5, s16, s5
	s_add_u32 s5, s17, s5
	s_addc_u32 s17, 0, s18
	s_add_u32 s18, s4, s5
	s_cselect_b64 s[4:5], -1, 0
	s_cmp_lg_u64 s[4:5], 0
	s_addc_u32 s16, s16, s17
	s_mul_i32 s4, s14, s16
	s_mul_hi_u32 s5, s14, s18
	s_add_i32 s4, s5, s4
	s_mul_i32 s15, s15, s18
	s_add_i32 s4, s4, s15
	s_mul_i32 s14, s14, s18
	s_mul_hi_u32 s15, s16, s14
	s_mul_i32 s17, s16, s14
	s_mul_i32 s20, s18, s4
	s_mul_hi_u32 s14, s18, s14
	s_mul_hi_u32 s19, s18, s4
	s_add_u32 s14, s14, s20
	s_addc_u32 s19, 0, s19
	s_add_u32 s14, s14, s17
	s_mul_hi_u32 s5, s16, s4
	s_addc_u32 s14, s19, s15
	s_addc_u32 s5, s5, 0
	s_mul_i32 s4, s16, s4
	s_add_u32 s4, s14, s4
	s_addc_u32 s14, 0, s5
	s_add_u32 s15, s18, s4
	s_cselect_b64 s[4:5], -1, 0
	s_cmp_lg_u64 s[4:5], 0
	s_addc_u32 s14, s16, s14
	v_mad_u64_u32 v[6:7], s[4:5], v8, s14, 0
	v_mul_hi_u32 v10, v8, s15
	v_lshl_add_u64 v[6:7], v[10:11], 0, v[6:7]
	v_mad_u64_u32 v[14:15], s[4:5], v9, s15, 0
	v_add_co_u32_e32 v1, vcc, v6, v14
	v_mad_u64_u32 v[12:13], s[4:5], v9, s14, 0
	s_nop 0
	v_addc_co_u32_e32 v10, vcc, v7, v15, vcc
	s_nop 1
	v_addc_co_u32_e32 v13, vcc, 0, v13, vcc
	v_lshl_add_u64 v[6:7], v[10:11], 0, v[12:13]
	v_mul_lo_u32 v1, s11, v6
	v_mul_lo_u32 v12, s10, v7
	v_mad_u64_u32 v[10:11], s[4:5], s10, v6, 0
	v_add3_u32 v1, v11, v12, v1
	v_sub_u32_e32 v11, v9, v1
	v_mov_b32_e32 v12, s11
	v_sub_co_u32_e32 v8, vcc, v8, v10
	s_nop 1
	v_subb_co_u32_e64 v10, s[4:5], v11, v12, vcc
	v_subrev_co_u32_e64 v11, s[4:5], s10, v8
	v_subb_co_u32_e32 v1, vcc, v9, v1, vcc
	s_nop 0
	v_subbrev_co_u32_e64 v10, s[4:5], 0, v10, s[4:5]
	v_cmp_le_u32_e64 s[4:5], s11, v10
	v_cmp_le_u32_e32 vcc, s11, v1
	s_nop 0
	v_cndmask_b32_e64 v12, 0, -1, s[4:5]
	v_cmp_le_u32_e64 s[4:5], s10, v11
	v_cndmask_b32_e64 v9, 0, -1, vcc
	v_cmp_le_u32_e32 vcc, s10, v8
	v_cndmask_b32_e64 v11, 0, -1, s[4:5]
	v_cmp_eq_u32_e64 s[4:5], s11, v10
	v_cndmask_b32_e64 v8, 0, -1, vcc
	v_cmp_eq_u32_e32 vcc, s11, v1
	v_cndmask_b32_e64 v14, v12, v11, s[4:5]
	v_lshl_add_u64 v[10:11], v[6:7], 0, 2
	v_lshl_add_u64 v[12:13], v[6:7], 0, 1
	v_cmp_ne_u32_e64 s[4:5], 0, v14
	v_cndmask_b32_e32 v1, v9, v8, vcc
	v_cmp_ne_u32_e32 vcc, 0, v1
	v_cndmask_b32_e64 v11, v13, v11, s[4:5]
	v_cndmask_b32_e64 v1, v12, v10, s[4:5]
	v_cndmask_b32_e32 v7, v7, v11, vcc
	v_cndmask_b32_e32 v6, v6, v1, vcc
                                        ; implicit-def: $vgpr8
.LBB36_3:
	s_or_saveexec_b64 s[4:5], s[12:13]
	s_load_dwordx4 s[12:15], s[0:1], 0x0
	s_xor_b64 exec, exec, s[4:5]
	s_cbranch_execz .LBB36_5
; %bb.4:
	v_cvt_f32_u32_e32 v1, s10
	s_sub_i32 s16, 0, s10
	v_rcp_iflag_f32_e32 v1, v1
	s_nop 0
	v_mul_f32_e32 v1, 0x4f7ffffe, v1
	v_cvt_u32_f32_e32 v1, v1
	v_mul_lo_u32 v6, s16, v1
	v_mul_hi_u32 v6, v1, v6
	v_add_u32_e32 v1, v1, v6
	v_mul_hi_u32 v1, v8, v1
	v_mul_lo_u32 v6, v1, s10
	v_sub_u32_e32 v6, v8, v6
	v_add_u32_e32 v7, 1, v1
	v_subrev_u32_e32 v8, s10, v6
	v_cmp_le_u32_e32 vcc, s10, v6
	s_nop 1
	v_cndmask_b32_e32 v6, v6, v8, vcc
	v_cndmask_b32_e32 v1, v1, v7, vcc
	v_add_u32_e32 v7, 1, v1
	v_cmp_le_u32_e32 vcc, s10, v6
	s_nop 1
	v_cndmask_b32_e32 v6, v1, v7, vcc
	v_mov_b32_e32 v7, 0
.LBB36_5:
	s_or_b64 exec, exec, s[4:5]
	s_load_dwordx4 s[16:19], s[0:1], 0x10
	v_lshl_add_u64 v[4:5], v[6:7], 0, v[4:5]
	v_lshl_add_u64 v[12:13], v[4:5], 0, 1
	s_mov_b64 s[0:1], 0
	v_cmp_lt_u64_e32 vcc, 1, v[12:13]
	s_waitcnt lgkmcnt(0)
	s_lshl_b64 s[4:5], s[16:17], 1
	s_add_u32 s20, s4, -2
	s_addc_u32 s21, s5, -1
	v_cmp_lt_i64_e64 s[26:27], s[20:21], 1
	v_cmp_gt_i64_e64 s[22:23], s[20:21], 0
                                        ; implicit-def: $vgpr4_vgpr5
                                        ; implicit-def: $vgpr6_vgpr7
	s_and_saveexec_b64 s[4:5], vcc
	s_xor_b64 s[24:25], exec, s[4:5]
	s_cbranch_execnz .LBB36_8
; %bb.6:
	s_andn2_saveexec_b64 s[2:3], s[24:25]
	s_cbranch_execnz .LBB36_31
.LBB36_7:
	s_or_b64 exec, exec, s[2:3]
	s_and_b64 exec, exec, s[0:1]
	s_cbranch_execnz .LBB36_32
	s_branch .LBB36_44
.LBB36_8:
	s_mul_hi_u32 s0, s30, s3
	s_add_i32 s31, s0, s31
	s_xor_b64 s[34:35], s[26:27], -1
	v_lshl_add_u64 v[4:5], v[2:3], 0, s[10:11]
	s_lshl_b64 s[42:43], s[10:11], 1
	v_and_b32_e32 v14, -2, v12
	v_mov_b32_e32 v15, v13
	s_sub_u32 s40, 0, s8
	v_mov_b32_e32 v1, s19
	v_subrev_co_u32_e32 v0, vcc, s18, v0
	v_mov_b64_e32 v[6:7], v[4:5]
	s_mul_hi_u32 s29, s3, s2
	s_mul_i32 s28, s3, s2
	s_mul_i32 s30, s30, s3
	s_mov_b32 s33, s20
	s_mov_b32 s58, s21
	;; [unrolled: 1-line block ×8, first 2 shown]
	s_mov_b64 s[46:47], 0
	s_subb_u32 s41, 0, s9
	v_subb_co_u32_e32 v1, vcc, 0, v1, vcc
	s_lshl_b64 s[48:49], s[10:11], 2
	v_lshl_add_u64 v[16:17], v[2:3], 2, s[14:15]
	s_lshl_b64 s[50:51], s[10:11], 3
	v_mov_b32_e32 v18, 0
	s_ashr_i32 s52, s9, 31
	v_mov_b64_e32 v[20:21], v[14:15]
	v_mov_b64_e32 v[4:5], v[2:3]
	s_branch .LBB36_11
.LBB36_9:                               ;   in Loop: Header=BB36_11 Depth=1
	s_or_b64 exec, exec, s[0:1]
.LBB36_10:                              ;   in Loop: Header=BB36_11 Depth=1
	v_ashrrev_i32_e32 v19, 31, v11
	v_and_b32_e32 v27, s58, v19
	v_and_b32_e32 v26, s33, v19
	v_ashrrev_i32_e32 v19, 31, v9
	v_lshl_add_u64 v[10:11], v[26:27], 0, v[10:11]
	v_and_b32_e32 v29, s21, v19
	v_and_b32_e32 v28, s20, v19
	v_mov_b32_e32 v19, s58
	v_sub_co_u32_e32 v26, vcc, s33, v10
	v_lshl_add_u64 v[8:9], v[28:29], 0, v[8:9]
	s_nop 0
	v_subb_co_u32_e32 v19, vcc, v19, v11, vcc
	v_mov_b32_e32 v27, s21
	v_sub_co_u32_e32 v28, vcc, s20, v8
	v_lshl_add_u64 v[20:21], v[20:21], 0, -2
	s_nop 0
	v_subb_co_u32_e32 v27, vcc, v27, v9, vcc
	v_cmp_gt_i64_e32 vcc, s[36:37], v[8:9]
	v_lshl_add_u64 v[6:7], v[6:7], 0, s[44:45]
	v_lshl_add_u64 v[4:5], v[4:5], 0, s[42:43]
	v_cndmask_b32_e32 v28, v28, v8, vcc
	v_cndmask_b32_e32 v27, v27, v9, vcc
	v_cmp_gt_i64_e32 vcc, s[38:39], v[10:11]
	v_lshl_add_u64 v[0:1], v[0:1], 0, s[42:43]
	s_nop 0
	v_cndmask_b32_e32 v8, v26, v10, vcc
	v_cndmask_b32_e32 v9, v19, v11, vcc
	v_mul_lo_u32 v19, v25, s38
	v_mul_lo_u32 v26, v24, s39
	v_mad_u64_u32 v[24:25], s[0:1], v24, s38, 0
	v_add3_u32 v25, v25, v26, v19
	v_mul_lo_u32 v19, v23, s36
	v_mul_lo_u32 v26, v22, s37
	v_mad_u64_u32 v[22:23], s[0:1], v22, s36, 0
	v_add3_u32 v23, v23, v26, v19
	v_cndmask_b32_e64 v11, v27, 0, s[26:27]
	v_cndmask_b32_e64 v10, v28, 0, s[26:27]
	v_lshl_add_u64 v[22:23], v[22:23], 2, s[12:13]
	v_cndmask_b32_e64 v9, v9, 0, s[26:27]
	v_cndmask_b32_e64 v8, v8, 0, s[26:27]
	v_lshl_add_u64 v[24:25], v[24:25], 2, s[12:13]
	v_lshl_add_u64 v[10:11], v[10:11], 2, v[22:23]
	;; [unrolled: 1-line block ×3, first 2 shown]
	global_load_dword v19, v[10:11], off
	global_load_dword v22, v[8:9], off
	v_cmp_eq_u64_e32 vcc, 0, v[20:21]
	v_lshl_add_u64 v[8:9], v[16:17], 0, s[48:49]
	s_or_b64 s[46:47], vcc, s[46:47]
	s_waitcnt vmcnt(1)
	global_store_dword v[16:17], v19, off
	s_waitcnt vmcnt(1)
	global_store_dword v[8:9], v22, off
	v_lshl_add_u64 v[16:17], v[16:17], 0, s[50:51]
	s_andn2_b64 exec, exec, s[46:47]
	s_cbranch_execz .LBB36_30
.LBB36_11:                              ; =>This Inner Loop Header: Depth=1
	v_or_b32_e32 v19, s9, v5
	v_cmp_ne_u64_e32 vcc, 0, v[18:19]
                                        ; implicit-def: $vgpr22_vgpr23
	s_and_saveexec_b64 s[0:1], vcc
	s_xor_b64 s[2:3], exec, s[0:1]
	s_cbranch_execz .LBB36_13
; %bb.12:                               ;   in Loop: Header=BB36_11 Depth=1
	s_add_u32 s0, s8, s52
	s_mov_b32 s53, s52
	s_addc_u32 s1, s9, s52
	s_xor_b64 s[4:5], s[0:1], s[52:53]
	v_cvt_f32_u32_e32 v8, s4
	v_cvt_f32_u32_e32 v9, s5
	s_sub_u32 s53, 0, s4
	s_subb_u32 s54, 0, s5
	v_mov_b32_e32 v23, v18
	v_fmac_f32_e32 v8, 0x4f800000, v9
	v_rcp_f32_e32 v8, v8
	s_nop 0
	v_mul_f32_e32 v8, 0x5f7ffffc, v8
	v_mul_f32_e32 v9, 0x2f800000, v8
	v_trunc_f32_e32 v9, v9
	v_fmac_f32_e32 v8, 0xcf800000, v9
	v_cvt_u32_f32_e32 v9, v9
	v_cvt_u32_f32_e32 v8, v8
	v_readfirstlane_b32 s55, v9
	v_readfirstlane_b32 s0, v8
	s_mul_i32 s1, s53, s55
	s_mul_hi_u32 s57, s53, s0
	s_mul_i32 s56, s54, s0
	s_add_i32 s1, s57, s1
	s_add_i32 s1, s1, s56
	s_mul_i32 s59, s53, s0
	s_mul_i32 s57, s0, s1
	s_mul_hi_u32 s60, s0, s59
	s_mul_hi_u32 s56, s0, s1
	s_add_u32 s57, s60, s57
	s_addc_u32 s56, 0, s56
	s_mul_hi_u32 s61, s55, s59
	s_mul_i32 s59, s55, s59
	s_add_u32 s57, s57, s59
	s_mul_hi_u32 s60, s55, s1
	s_addc_u32 s56, s56, s61
	s_addc_u32 s57, s60, 0
	s_mul_i32 s1, s55, s1
	s_add_u32 s1, s56, s1
	s_addc_u32 s56, 0, s57
	s_add_u32 s57, s0, s1
	s_cselect_b64 s[0:1], -1, 0
	s_cmp_lg_u64 s[0:1], 0
	s_addc_u32 s55, s55, s56
	s_mul_i32 s0, s53, s55
	s_mul_hi_u32 s1, s53, s57
	s_add_i32 s0, s1, s0
	s_mul_i32 s54, s54, s57
	s_add_i32 s0, s0, s54
	s_mul_i32 s53, s53, s57
	s_mul_hi_u32 s54, s55, s53
	s_mul_i32 s56, s55, s53
	s_mul_i32 s60, s57, s0
	s_mul_hi_u32 s53, s57, s53
	s_mul_hi_u32 s59, s57, s0
	s_add_u32 s53, s53, s60
	s_addc_u32 s59, 0, s59
	s_add_u32 s53, s53, s56
	s_mul_hi_u32 s1, s55, s0
	s_addc_u32 s53, s59, s54
	s_addc_u32 s1, s1, 0
	s_mul_i32 s0, s55, s0
	s_add_u32 s0, s53, s0
	s_addc_u32 s53, 0, s1
	s_add_u32 s54, s57, s0
	v_ashrrev_i32_e32 v8, 31, v5
	s_cselect_b64 s[0:1], -1, 0
	v_mov_b32_e32 v9, v8
	s_cmp_lg_u64 s[0:1], 0
	v_lshl_add_u64 v[10:11], v[4:5], 0, v[8:9]
	s_addc_u32 s53, s55, s53
	v_xor_b32_e32 v19, v10, v8
	v_xor_b32_e32 v9, v11, v8
	v_mad_u64_u32 v[10:11], s[0:1], v19, s53, 0
	v_mul_hi_u32 v22, v19, s54
	v_lshl_add_u64 v[10:11], v[22:23], 0, v[10:11]
	v_mad_u64_u32 v[24:25], s[0:1], v9, s54, 0
	v_add_co_u32_e32 v10, vcc, v10, v24
	v_mad_u64_u32 v[22:23], s[0:1], v9, s53, 0
	s_nop 0
	v_addc_co_u32_e32 v10, vcc, v11, v25, vcc
	v_mov_b32_e32 v11, v18
	s_nop 0
	v_addc_co_u32_e32 v23, vcc, 0, v23, vcc
	v_lshl_add_u64 v[10:11], v[10:11], 0, v[22:23]
	v_mul_lo_u32 v24, s5, v10
	v_mul_lo_u32 v25, s4, v11
	v_mad_u64_u32 v[22:23], s[0:1], s4, v10, 0
	v_add3_u32 v26, v23, v25, v24
	v_sub_u32_e32 v23, v9, v26
	v_mov_b32_e32 v24, s5
	v_sub_co_u32_e32 v19, vcc, v19, v22
	v_xor_b32_e32 v8, s52, v8
	s_nop 0
	v_subb_co_u32_e64 v22, s[0:1], v23, v24, vcc
	v_subrev_co_u32_e64 v23, s[0:1], s4, v19
	v_subb_co_u32_e32 v9, vcc, v9, v26, vcc
	s_nop 0
	v_subbrev_co_u32_e64 v22, s[0:1], 0, v22, s[0:1]
	v_cmp_le_u32_e64 s[0:1], s5, v22
	v_cmp_le_u32_e32 vcc, s5, v9
	s_nop 0
	v_cndmask_b32_e64 v24, 0, -1, s[0:1]
	v_cmp_le_u32_e64 s[0:1], s4, v23
	s_nop 1
	v_cndmask_b32_e64 v23, 0, -1, s[0:1]
	v_cmp_eq_u32_e64 s[0:1], s5, v22
	s_nop 1
	v_cndmask_b32_e64 v27, v24, v23, s[0:1]
	v_lshl_add_u64 v[22:23], v[10:11], 0, 2
	v_lshl_add_u64 v[24:25], v[10:11], 0, 1
	v_cmp_ne_u32_e64 s[0:1], 0, v27
	s_nop 1
	v_cndmask_b32_e64 v23, v25, v23, s[0:1]
	v_cndmask_b32_e64 v25, 0, -1, vcc
	v_cmp_le_u32_e32 vcc, s4, v19
	s_nop 1
	v_cndmask_b32_e64 v19, 0, -1, vcc
	v_cmp_eq_u32_e32 vcc, s5, v9
	s_nop 1
	v_cndmask_b32_e32 v9, v25, v19, vcc
	v_cmp_ne_u32_e32 vcc, 0, v9
	s_nop 1
	v_cndmask_b32_e32 v9, v11, v23, vcc
	v_cndmask_b32_e64 v11, v24, v22, s[0:1]
	v_cndmask_b32_e32 v10, v10, v11, vcc
	v_xor_b32_e32 v10, v10, v8
	v_xor_b32_e32 v9, v9, v8
	v_sub_co_u32_e32 v22, vcc, v10, v8
	s_nop 1
	v_subb_co_u32_e32 v23, vcc, v9, v8, vcc
.LBB36_13:                              ;   in Loop: Header=BB36_11 Depth=1
	s_or_saveexec_b64 s[0:1], s[2:3]
	v_cvt_f32_u32_e32 v8, s8
	v_rcp_iflag_f32_e32 v8, v8
	s_xor_b64 exec, exec, s[0:1]
	s_cbranch_execz .LBB36_15
; %bb.14:                               ;   in Loop: Header=BB36_11 Depth=1
	v_mul_f32_e32 v9, 0x4f7ffffe, v8
	v_cvt_u32_f32_e32 v9, v9
	s_sub_i32 s2, 0, s8
	v_mov_b32_e32 v23, v18
	v_mul_lo_u32 v10, s2, v9
	v_mul_hi_u32 v10, v9, v10
	v_add_u32_e32 v9, v9, v10
	v_mul_hi_u32 v9, v4, v9
	v_mul_lo_u32 v10, v9, s8
	v_sub_u32_e32 v10, v4, v10
	v_add_u32_e32 v11, 1, v9
	v_subrev_u32_e32 v19, s8, v10
	v_cmp_le_u32_e32 vcc, s8, v10
	s_nop 1
	v_cndmask_b32_e32 v10, v10, v19, vcc
	v_cndmask_b32_e32 v9, v9, v11, vcc
	v_add_u32_e32 v11, 1, v9
	v_cmp_le_u32_e32 vcc, s8, v10
	s_nop 1
	v_cndmask_b32_e32 v22, v9, v11, vcc
.LBB36_15:                              ;   in Loop: Header=BB36_11 Depth=1
	s_or_b64 exec, exec, s[0:1]
	v_or_b32_e32 v19, s9, v7
	v_cmp_ne_u64_e32 vcc, 0, v[18:19]
                                        ; implicit-def: $vgpr24_vgpr25
	s_and_saveexec_b64 s[0:1], vcc
	s_xor_b64 s[2:3], exec, s[0:1]
	s_cbranch_execz .LBB36_17
; %bb.16:                               ;   in Loop: Header=BB36_11 Depth=1
	s_add_u32 s0, s8, s52
	s_mov_b32 s53, s52
	s_addc_u32 s1, s9, s52
	s_xor_b64 s[4:5], s[0:1], s[52:53]
	v_cvt_f32_u32_e32 v8, s4
	v_cvt_f32_u32_e32 v9, s5
	s_sub_u32 s53, 0, s4
	s_subb_u32 s54, 0, s5
	v_mov_b32_e32 v25, v18
	v_fmac_f32_e32 v8, 0x4f800000, v9
	v_rcp_f32_e32 v8, v8
	s_nop 0
	v_mul_f32_e32 v8, 0x5f7ffffc, v8
	v_mul_f32_e32 v9, 0x2f800000, v8
	v_trunc_f32_e32 v9, v9
	v_fmac_f32_e32 v8, 0xcf800000, v9
	v_cvt_u32_f32_e32 v9, v9
	v_cvt_u32_f32_e32 v8, v8
	v_readfirstlane_b32 s55, v9
	v_readfirstlane_b32 s0, v8
	s_mul_i32 s1, s53, s55
	s_mul_hi_u32 s57, s53, s0
	s_mul_i32 s56, s54, s0
	s_add_i32 s1, s57, s1
	s_add_i32 s1, s1, s56
	s_mul_i32 s59, s53, s0
	s_mul_i32 s57, s0, s1
	s_mul_hi_u32 s60, s0, s59
	s_mul_hi_u32 s56, s0, s1
	s_add_u32 s57, s60, s57
	s_addc_u32 s56, 0, s56
	s_mul_hi_u32 s61, s55, s59
	s_mul_i32 s59, s55, s59
	s_add_u32 s57, s57, s59
	s_mul_hi_u32 s60, s55, s1
	s_addc_u32 s56, s56, s61
	s_addc_u32 s57, s60, 0
	s_mul_i32 s1, s55, s1
	s_add_u32 s1, s56, s1
	s_addc_u32 s56, 0, s57
	s_add_u32 s57, s0, s1
	s_cselect_b64 s[0:1], -1, 0
	s_cmp_lg_u64 s[0:1], 0
	s_addc_u32 s55, s55, s56
	s_mul_i32 s0, s53, s55
	s_mul_hi_u32 s1, s53, s57
	s_add_i32 s0, s1, s0
	s_mul_i32 s54, s54, s57
	s_add_i32 s0, s0, s54
	s_mul_i32 s53, s53, s57
	s_mul_hi_u32 s54, s55, s53
	s_mul_i32 s56, s55, s53
	s_mul_i32 s60, s57, s0
	s_mul_hi_u32 s53, s57, s53
	s_mul_hi_u32 s59, s57, s0
	s_add_u32 s53, s53, s60
	s_addc_u32 s59, 0, s59
	s_add_u32 s53, s53, s56
	s_mul_hi_u32 s1, s55, s0
	s_addc_u32 s53, s59, s54
	s_addc_u32 s1, s1, 0
	s_mul_i32 s0, s55, s0
	s_add_u32 s0, s53, s0
	s_addc_u32 s53, 0, s1
	s_add_u32 s54, s57, s0
	v_ashrrev_i32_e32 v8, 31, v7
	s_cselect_b64 s[0:1], -1, 0
	v_mov_b32_e32 v9, v8
	s_cmp_lg_u64 s[0:1], 0
	v_lshl_add_u64 v[10:11], v[6:7], 0, v[8:9]
	s_addc_u32 s53, s55, s53
	v_xor_b32_e32 v19, v10, v8
	v_xor_b32_e32 v9, v11, v8
	v_mad_u64_u32 v[10:11], s[0:1], v19, s53, 0
	v_mul_hi_u32 v24, v19, s54
	v_lshl_add_u64 v[10:11], v[24:25], 0, v[10:11]
	v_mad_u64_u32 v[26:27], s[0:1], v9, s54, 0
	v_add_co_u32_e32 v10, vcc, v10, v26
	v_mad_u64_u32 v[24:25], s[0:1], v9, s53, 0
	s_nop 0
	v_addc_co_u32_e32 v10, vcc, v11, v27, vcc
	v_mov_b32_e32 v11, v18
	s_nop 0
	v_addc_co_u32_e32 v25, vcc, 0, v25, vcc
	v_lshl_add_u64 v[10:11], v[10:11], 0, v[24:25]
	v_mul_lo_u32 v26, s5, v10
	v_mul_lo_u32 v27, s4, v11
	v_mad_u64_u32 v[24:25], s[0:1], s4, v10, 0
	v_add3_u32 v28, v25, v27, v26
	v_sub_u32_e32 v25, v9, v28
	v_mov_b32_e32 v26, s5
	v_sub_co_u32_e32 v19, vcc, v19, v24
	v_xor_b32_e32 v8, s52, v8
	s_nop 0
	v_subb_co_u32_e64 v24, s[0:1], v25, v26, vcc
	v_subrev_co_u32_e64 v25, s[0:1], s4, v19
	v_subb_co_u32_e32 v9, vcc, v9, v28, vcc
	s_nop 0
	v_subbrev_co_u32_e64 v24, s[0:1], 0, v24, s[0:1]
	v_cmp_le_u32_e64 s[0:1], s5, v24
	v_cmp_le_u32_e32 vcc, s5, v9
	s_nop 0
	v_cndmask_b32_e64 v26, 0, -1, s[0:1]
	v_cmp_le_u32_e64 s[0:1], s4, v25
	s_nop 1
	v_cndmask_b32_e64 v25, 0, -1, s[0:1]
	v_cmp_eq_u32_e64 s[0:1], s5, v24
	s_nop 1
	v_cndmask_b32_e64 v29, v26, v25, s[0:1]
	v_lshl_add_u64 v[24:25], v[10:11], 0, 2
	v_lshl_add_u64 v[26:27], v[10:11], 0, 1
	v_cmp_ne_u32_e64 s[0:1], 0, v29
	s_nop 1
	v_cndmask_b32_e64 v25, v27, v25, s[0:1]
	v_cndmask_b32_e64 v27, 0, -1, vcc
	v_cmp_le_u32_e32 vcc, s4, v19
	s_nop 1
	v_cndmask_b32_e64 v19, 0, -1, vcc
	v_cmp_eq_u32_e32 vcc, s5, v9
	s_nop 1
	v_cndmask_b32_e32 v9, v27, v19, vcc
	v_cmp_ne_u32_e32 vcc, 0, v9
	s_nop 1
	v_cndmask_b32_e32 v9, v11, v25, vcc
	v_cndmask_b32_e64 v11, v26, v24, s[0:1]
	v_cndmask_b32_e32 v10, v10, v11, vcc
	v_xor_b32_e32 v10, v10, v8
	v_xor_b32_e32 v9, v9, v8
	v_sub_co_u32_e32 v24, vcc, v10, v8
	s_nop 1
	v_subb_co_u32_e32 v25, vcc, v9, v8, vcc
                                        ; implicit-def: $vgpr8
.LBB36_17:                              ;   in Loop: Header=BB36_11 Depth=1
	s_andn2_saveexec_b64 s[0:1], s[2:3]
	s_cbranch_execz .LBB36_19
; %bb.18:                               ;   in Loop: Header=BB36_11 Depth=1
	v_mul_f32_e32 v8, 0x4f7ffffe, v8
	v_cvt_u32_f32_e32 v8, v8
	s_sub_i32 s2, 0, s8
	v_mov_b32_e32 v25, v18
	v_mul_lo_u32 v9, s2, v8
	v_mul_hi_u32 v9, v8, v9
	v_add_u32_e32 v8, v8, v9
	v_mul_hi_u32 v8, v6, v8
	v_mul_lo_u32 v9, v8, s8
	v_sub_u32_e32 v9, v6, v9
	v_add_u32_e32 v10, 1, v8
	v_subrev_u32_e32 v11, s8, v9
	v_cmp_le_u32_e32 vcc, s8, v9
	s_nop 1
	v_cndmask_b32_e32 v9, v9, v11, vcc
	v_cndmask_b32_e32 v8, v8, v10, vcc
	v_add_u32_e32 v10, 1, v8
	v_cmp_le_u32_e32 vcc, s8, v9
	s_nop 1
	v_cndmask_b32_e32 v24, v8, v10, vcc
.LBB36_19:                              ;   in Loop: Header=BB36_11 Depth=1
	s_or_b64 exec, exec, s[0:1]
	v_cndmask_b32_e64 v8, 0, 1, s[34:35]
	v_cmp_ne_u32_e64 s[0:1], 1, v8
	s_andn2_b64 vcc, exec, s[34:35]
                                        ; implicit-def: $vgpr8_vgpr9_vgpr10_vgpr11
	s_cbranch_vccnz .LBB36_25
; %bb.20:                               ;   in Loop: Header=BB36_11 Depth=1
	v_lshl_add_u64 v[8:9], s[28:29], 0, v[0:1]
	v_mul_lo_u32 v19, s40, v23
	v_mul_lo_u32 v26, s41, v22
	v_mad_u64_u32 v[10:11], s[2:3], s40, v22, v[8:9]
	v_add3_u32 v11, v26, v11, v19
	v_or_b32_e32 v19, s21, v11
	v_cmp_ne_u64_e32 vcc, 0, v[18:19]
                                        ; implicit-def: $vgpr8_vgpr9
	s_and_saveexec_b64 s[2:3], vcc
	s_xor_b64 s[54:55], exec, s[2:3]
	s_cbranch_execz .LBB36_22
; %bb.21:                               ;   in Loop: Header=BB36_11 Depth=1
	s_ashr_i32 s2, s21, 31
	s_add_u32 s4, s20, s2
	s_mov_b32 s3, s2
	s_addc_u32 s5, s21, s2
	s_xor_b64 s[56:57], s[4:5], s[2:3]
	v_cvt_f32_u32_e32 v8, s56
	v_cvt_f32_u32_e32 v9, s57
	s_sub_u32 s4, 0, s56
	s_subb_u32 s5, 0, s57
	v_ashrrev_i32_e32 v26, 31, v11
	v_fmac_f32_e32 v8, 0x4f800000, v9
	v_rcp_f32_e32 v8, v8
	v_mov_b32_e32 v27, v26
	v_mul_f32_e32 v8, 0x5f7ffffc, v8
	v_mul_f32_e32 v9, 0x2f800000, v8
	v_trunc_f32_e32 v9, v9
	v_fmac_f32_e32 v8, 0xcf800000, v9
	v_cvt_u32_f32_e32 v9, v9
	v_cvt_u32_f32_e32 v8, v8
	v_readfirstlane_b32 s53, v9
	v_readfirstlane_b32 s2, v8
	s_mul_i32 s3, s4, s53
	s_mul_hi_u32 s60, s4, s2
	s_mul_i32 s59, s5, s2
	s_add_i32 s3, s60, s3
	s_add_i32 s3, s3, s59
	s_mul_i32 s61, s4, s2
	s_mul_i32 s60, s2, s3
	s_mul_hi_u32 s62, s2, s61
	s_mul_hi_u32 s59, s2, s3
	s_add_u32 s60, s62, s60
	s_addc_u32 s59, 0, s59
	s_mul_hi_u32 s63, s53, s61
	s_mul_i32 s61, s53, s61
	s_add_u32 s60, s60, s61
	s_mul_hi_u32 s62, s53, s3
	s_addc_u32 s59, s59, s63
	s_addc_u32 s60, s62, 0
	s_mul_i32 s3, s53, s3
	s_add_u32 s3, s59, s3
	s_addc_u32 s59, 0, s60
	s_add_u32 s60, s2, s3
	s_cselect_b64 s[2:3], -1, 0
	s_cmp_lg_u64 s[2:3], 0
	s_addc_u32 s53, s53, s59
	s_mul_i32 s2, s4, s53
	s_mul_hi_u32 s3, s4, s60
	s_add_i32 s2, s3, s2
	s_mul_i32 s5, s5, s60
	s_add_i32 s2, s2, s5
	s_mul_i32 s4, s4, s60
	s_mul_hi_u32 s5, s53, s4
	s_mul_i32 s59, s53, s4
	s_mul_i32 s62, s60, s2
	s_mul_hi_u32 s4, s60, s4
	s_mul_hi_u32 s61, s60, s2
	s_add_u32 s4, s4, s62
	s_addc_u32 s61, 0, s61
	s_add_u32 s4, s4, s59
	s_mul_hi_u32 s3, s53, s2
	s_addc_u32 s4, s61, s5
	s_addc_u32 s3, s3, 0
	s_mul_i32 s2, s53, s2
	s_add_u32 s2, s4, s2
	s_addc_u32 s4, 0, s3
	s_add_u32 s5, s60, s2
	s_cselect_b64 s[2:3], -1, 0
	s_cmp_lg_u64 s[2:3], 0
	v_lshl_add_u64 v[8:9], v[10:11], 0, v[26:27]
	s_addc_u32 s4, s53, s4
	v_xor_b32_e32 v27, v8, v26
	v_xor_b32_e32 v19, v9, v26
	v_mad_u64_u32 v[8:9], s[2:3], v27, s4, 0
	v_mul_hi_u32 v10, v27, s5
	v_mov_b32_e32 v11, v18
	v_lshl_add_u64 v[8:9], v[10:11], 0, v[8:9]
	v_mad_u64_u32 v[28:29], s[2:3], v19, s5, 0
	v_add_co_u32_e32 v8, vcc, v8, v28
	v_mad_u64_u32 v[10:11], s[2:3], v19, s4, 0
	s_nop 0
	v_addc_co_u32_e32 v8, vcc, v9, v29, vcc
	v_mov_b32_e32 v9, v18
	s_nop 0
	v_addc_co_u32_e32 v11, vcc, 0, v11, vcc
	v_lshl_add_u64 v[8:9], v[8:9], 0, v[10:11]
	v_mul_lo_u32 v10, s57, v8
	v_mul_lo_u32 v11, s56, v9
	v_mad_u64_u32 v[8:9], s[2:3], s56, v8, 0
	v_add3_u32 v9, v9, v11, v10
	v_sub_u32_e32 v10, v19, v9
	v_mov_b32_e32 v11, s57
	v_sub_co_u32_e32 v8, vcc, v27, v8
	s_nop 1
	v_subb_co_u32_e64 v10, s[2:3], v10, v11, vcc
	v_subrev_co_u32_e64 v27, s[2:3], s56, v8
	v_subb_co_u32_e32 v9, vcc, v19, v9, vcc
	s_nop 0
	v_subbrev_co_u32_e64 v28, s[4:5], 0, v10, s[2:3]
	v_cmp_le_u32_e64 s[4:5], s57, v28
	v_subb_co_u32_e64 v10, s[2:3], v10, v11, s[2:3]
	s_nop 0
	v_cndmask_b32_e64 v29, 0, -1, s[4:5]
	v_cmp_le_u32_e64 s[4:5], s56, v27
	v_subrev_co_u32_e64 v11, s[2:3], s56, v27
	s_nop 0
	v_cndmask_b32_e64 v30, 0, -1, s[4:5]
	v_cmp_eq_u32_e64 s[4:5], s57, v28
	v_subbrev_co_u32_e64 v10, s[2:3], 0, v10, s[2:3]
	s_nop 0
	v_cndmask_b32_e64 v29, v29, v30, s[4:5]
	v_cmp_le_u32_e32 vcc, s57, v9
	v_cmp_ne_u32_e64 s[2:3], 0, v29
	s_nop 0
	v_cndmask_b32_e64 v19, 0, -1, vcc
	v_cmp_le_u32_e32 vcc, s56, v8
	v_cndmask_b32_e64 v10, v28, v10, s[2:3]
	s_nop 0
	v_cndmask_b32_e64 v28, 0, -1, vcc
	v_cmp_eq_u32_e32 vcc, s57, v9
	s_nop 1
	v_cndmask_b32_e32 v19, v19, v28, vcc
	v_cmp_ne_u32_e32 vcc, 0, v19
	s_nop 1
	v_cndmask_b32_e32 v9, v9, v10, vcc
	v_cndmask_b32_e64 v10, v27, v11, s[2:3]
	v_cndmask_b32_e32 v8, v8, v10, vcc
	v_xor_b32_e32 v8, v8, v26
	v_xor_b32_e32 v9, v9, v26
	v_sub_co_u32_e32 v8, vcc, v8, v26
                                        ; implicit-def: $vgpr10_vgpr11
	s_nop 1
	v_subb_co_u32_e32 v9, vcc, v9, v26, vcc
.LBB36_22:                              ;   in Loop: Header=BB36_11 Depth=1
	s_andn2_saveexec_b64 s[2:3], s[54:55]
	s_cbranch_execz .LBB36_24
; %bb.23:                               ;   in Loop: Header=BB36_11 Depth=1
	v_cvt_f32_u32_e32 v8, s20
	s_sub_i32 s4, 0, s20
	v_rcp_iflag_f32_e32 v8, v8
	s_nop 0
	v_mul_f32_e32 v8, 0x4f7ffffe, v8
	v_cvt_u32_f32_e32 v8, v8
	v_mul_lo_u32 v9, s4, v8
	v_mul_hi_u32 v9, v8, v9
	v_add_u32_e32 v8, v8, v9
	v_mul_hi_u32 v8, v10, v8
	v_mul_lo_u32 v8, v8, s20
	v_sub_u32_e32 v8, v10, v8
	v_subrev_u32_e32 v9, s20, v8
	v_cmp_le_u32_e32 vcc, s20, v8
	s_nop 1
	v_cndmask_b32_e32 v8, v8, v9, vcc
	v_subrev_u32_e32 v9, s20, v8
	v_cmp_le_u32_e32 vcc, s20, v8
	s_nop 1
	v_cndmask_b32_e32 v8, v8, v9, vcc
	v_mov_b32_e32 v9, v18
.LBB36_24:                              ;   in Loop: Header=BB36_11 Depth=1
	s_or_b64 exec, exec, s[2:3]
.LBB36_25:                              ;   in Loop: Header=BB36_11 Depth=1
	s_and_b64 vcc, exec, s[0:1]
	s_cbranch_vccnz .LBB36_10
; %bb.26:                               ;   in Loop: Header=BB36_11 Depth=1
	v_lshl_add_u64 v[10:11], s[30:31], 0, v[0:1]
	v_mul_lo_u32 v19, s40, v25
	v_mul_lo_u32 v28, s41, v24
	v_mad_u64_u32 v[26:27], s[0:1], s40, v24, v[10:11]
	v_add3_u32 v27, v28, v27, v19
	v_or_b32_e32 v19, s21, v27
	v_cmp_ne_u64_e32 vcc, 0, v[18:19]
	s_and_saveexec_b64 s[0:1], vcc
	s_xor_b64 s[4:5], exec, s[0:1]
	s_cbranch_execz .LBB36_28
; %bb.27:                               ;   in Loop: Header=BB36_11 Depth=1
	s_ashr_i32 s0, s21, 31
	s_add_u32 s2, s20, s0
	s_mov_b32 s1, s0
	s_addc_u32 s3, s21, s0
	s_xor_b64 s[54:55], s[2:3], s[0:1]
	v_cvt_f32_u32_e32 v10, s54
	v_cvt_f32_u32_e32 v11, s55
	s_sub_u32 s2, 0, s54
	s_subb_u32 s3, 0, s55
	v_ashrrev_i32_e32 v28, 31, v27
	v_fmac_f32_e32 v10, 0x4f800000, v11
	v_rcp_f32_e32 v10, v10
	v_mov_b32_e32 v29, v28
	v_mul_f32_e32 v10, 0x5f7ffffc, v10
	v_mul_f32_e32 v11, 0x2f800000, v10
	v_trunc_f32_e32 v11, v11
	v_fmac_f32_e32 v10, 0xcf800000, v11
	v_cvt_u32_f32_e32 v11, v11
	v_cvt_u32_f32_e32 v10, v10
	v_readfirstlane_b32 s53, v11
	v_readfirstlane_b32 s0, v10
	s_mul_i32 s1, s2, s53
	s_mul_hi_u32 s57, s2, s0
	s_mul_i32 s56, s3, s0
	s_add_i32 s1, s57, s1
	s_add_i32 s1, s1, s56
	s_mul_i32 s59, s2, s0
	s_mul_i32 s57, s0, s1
	s_mul_hi_u32 s60, s0, s59
	s_mul_hi_u32 s56, s0, s1
	s_add_u32 s57, s60, s57
	s_addc_u32 s56, 0, s56
	s_mul_hi_u32 s61, s53, s59
	s_mul_i32 s59, s53, s59
	s_add_u32 s57, s57, s59
	s_mul_hi_u32 s60, s53, s1
	s_addc_u32 s56, s56, s61
	s_addc_u32 s57, s60, 0
	s_mul_i32 s1, s53, s1
	s_add_u32 s1, s56, s1
	s_addc_u32 s56, 0, s57
	s_add_u32 s57, s0, s1
	s_cselect_b64 s[0:1], -1, 0
	s_cmp_lg_u64 s[0:1], 0
	s_addc_u32 s53, s53, s56
	s_mul_i32 s0, s2, s53
	s_mul_hi_u32 s1, s2, s57
	s_add_i32 s0, s1, s0
	s_mul_i32 s3, s3, s57
	s_add_i32 s0, s0, s3
	s_mul_i32 s2, s2, s57
	s_mul_hi_u32 s3, s53, s2
	s_mul_i32 s56, s53, s2
	s_mul_i32 s60, s57, s0
	s_mul_hi_u32 s2, s57, s2
	s_mul_hi_u32 s59, s57, s0
	s_add_u32 s2, s2, s60
	s_addc_u32 s59, 0, s59
	s_add_u32 s2, s2, s56
	s_mul_hi_u32 s1, s53, s0
	s_addc_u32 s2, s59, s3
	s_addc_u32 s1, s1, 0
	s_mul_i32 s0, s53, s0
	s_add_u32 s0, s2, s0
	s_addc_u32 s2, 0, s1
	s_add_u32 s3, s57, s0
	s_cselect_b64 s[0:1], -1, 0
	s_cmp_lg_u64 s[0:1], 0
	v_lshl_add_u64 v[10:11], v[26:27], 0, v[28:29]
	s_addc_u32 s2, s53, s2
	v_xor_b32_e32 v29, v10, v28
	v_xor_b32_e32 v19, v11, v28
	v_mad_u64_u32 v[10:11], s[0:1], v29, s2, 0
	v_mul_hi_u32 v26, v29, s3
	v_mov_b32_e32 v27, v18
	v_lshl_add_u64 v[10:11], v[26:27], 0, v[10:11]
	v_mad_u64_u32 v[30:31], s[0:1], v19, s3, 0
	v_add_co_u32_e32 v10, vcc, v10, v30
	v_mad_u64_u32 v[26:27], s[0:1], v19, s2, 0
	s_nop 0
	v_addc_co_u32_e32 v10, vcc, v11, v31, vcc
	v_mov_b32_e32 v11, v18
	s_nop 0
	v_addc_co_u32_e32 v27, vcc, 0, v27, vcc
	v_lshl_add_u64 v[10:11], v[10:11], 0, v[26:27]
	v_mul_lo_u32 v26, s55, v10
	v_mul_lo_u32 v27, s54, v11
	v_mad_u64_u32 v[10:11], s[0:1], s54, v10, 0
	v_add3_u32 v11, v11, v27, v26
	v_sub_u32_e32 v26, v19, v11
	v_mov_b32_e32 v27, s55
	v_sub_co_u32_e32 v10, vcc, v29, v10
	s_nop 1
	v_subb_co_u32_e64 v26, s[0:1], v26, v27, vcc
	v_subrev_co_u32_e64 v29, s[0:1], s54, v10
	v_subb_co_u32_e32 v11, vcc, v19, v11, vcc
	s_nop 0
	v_subbrev_co_u32_e64 v30, s[2:3], 0, v26, s[0:1]
	v_cmp_le_u32_e64 s[2:3], s55, v30
	v_subb_co_u32_e64 v26, s[0:1], v26, v27, s[0:1]
	s_nop 0
	v_cndmask_b32_e64 v31, 0, -1, s[2:3]
	v_cmp_le_u32_e64 s[2:3], s54, v29
	v_subrev_co_u32_e64 v27, s[0:1], s54, v29
	s_nop 0
	v_cndmask_b32_e64 v32, 0, -1, s[2:3]
	v_cmp_eq_u32_e64 s[2:3], s55, v30
	v_subbrev_co_u32_e64 v26, s[0:1], 0, v26, s[0:1]
	s_nop 0
	v_cndmask_b32_e64 v31, v31, v32, s[2:3]
	v_cmp_le_u32_e32 vcc, s55, v11
	v_cmp_ne_u32_e64 s[0:1], 0, v31
	s_nop 0
	v_cndmask_b32_e64 v19, 0, -1, vcc
	v_cmp_le_u32_e32 vcc, s54, v10
	v_cndmask_b32_e64 v26, v30, v26, s[0:1]
	s_nop 0
	v_cndmask_b32_e64 v30, 0, -1, vcc
	v_cmp_eq_u32_e32 vcc, s55, v11
	s_nop 1
	v_cndmask_b32_e32 v19, v19, v30, vcc
	v_cmp_ne_u32_e32 vcc, 0, v19
	v_cndmask_b32_e64 v19, v29, v27, s[0:1]
	s_nop 0
	v_cndmask_b32_e32 v10, v10, v19, vcc
	v_cndmask_b32_e32 v11, v11, v26, vcc
	v_xor_b32_e32 v10, v10, v28
	v_xor_b32_e32 v11, v11, v28
	v_sub_co_u32_e32 v10, vcc, v10, v28
                                        ; implicit-def: $vgpr26_vgpr27
	s_nop 1
	v_subb_co_u32_e32 v11, vcc, v11, v28, vcc
.LBB36_28:                              ;   in Loop: Header=BB36_11 Depth=1
	s_andn2_saveexec_b64 s[0:1], s[4:5]
	s_cbranch_execz .LBB36_9
; %bb.29:                               ;   in Loop: Header=BB36_11 Depth=1
	v_cvt_f32_u32_e32 v10, s20
	s_sub_i32 s2, 0, s20
	v_rcp_iflag_f32_e32 v10, v10
	s_nop 0
	v_mul_f32_e32 v10, 0x4f7ffffe, v10
	v_cvt_u32_f32_e32 v10, v10
	v_mul_lo_u32 v11, s2, v10
	v_mul_hi_u32 v11, v10, v11
	v_add_u32_e32 v10, v10, v11
	v_mul_hi_u32 v10, v26, v10
	v_mul_lo_u32 v10, v10, s20
	v_sub_u32_e32 v10, v26, v10
	v_subrev_u32_e32 v11, s20, v10
	v_cmp_le_u32_e32 vcc, s20, v10
	s_nop 1
	v_cndmask_b32_e32 v10, v10, v11, vcc
	v_subrev_u32_e32 v11, s20, v10
	v_cmp_le_u32_e32 vcc, s20, v10
	s_nop 1
	v_cndmask_b32_e32 v10, v10, v11, vcc
	v_mov_b32_e32 v11, v18
	s_branch .LBB36_9
.LBB36_30:
	s_or_b64 exec, exec, s[46:47]
	v_mad_u64_u32 v[2:3], s[0:1], v14, s10, v[2:3]
	v_mul_lo_u32 v0, v14, s11
	v_mul_lo_u32 v1, v15, s10
	v_cmp_ne_u64_e32 vcc, v[12:13], v[14:15]
	v_add3_u32 v3, v1, v3, v0
	v_mov_b64_e32 v[6:7], s[48:49]
	v_mov_b64_e32 v[4:5], s[40:41]
	s_and_b64 s[0:1], vcc, exec
	s_andn2_saveexec_b64 s[2:3], s[24:25]
	s_cbranch_execz .LBB36_7
.LBB36_31:
	s_sub_u32 s4, 0, s8
	s_subb_u32 s5, 0, s9
	s_lshl_b64 s[24:25], s[10:11], 2
	v_mov_b64_e32 v[4:5], s[4:5]
	v_mov_b64_e32 v[6:7], s[24:25]
	s_or_b64 s[0:1], s[0:1], exec
	s_or_b64 exec, exec, s[2:3]
	s_and_b64 exec, exec, s[0:1]
	s_cbranch_execz .LBB36_44
.LBB36_32:
	v_cvt_f32_u32_e32 v8, s8
	s_sub_u32 s18, 0, s18
	v_cndmask_b32_e64 v10, 0, 1, s[22:23]
	s_subb_u32 s19, 0, s19
	v_rcp_iflag_f32_e32 v9, v8
	s_sub_i32 s2, 0, s8
	v_cmp_ne_u32_e64 s[0:1], 1, v10
	s_mov_b64 s[24:25], 0
	v_mul_f32_e32 v9, 0x4f7ffffe, v9
	v_cvt_u32_f32_e32 v9, v9
	v_lshl_add_u64 v[0:1], v[2:3], 2, s[14:15]
	v_mov_b32_e32 v8, 0
	s_ashr_i32 s14, s9, 31
	v_mul_lo_u32 v10, s2, v9
	v_mul_hi_u32 v10, v9, v10
	v_add_u32_e32 v16, v9, v10
	s_ashr_i32 s22, s21, 31
	s_branch .LBB36_35
.LBB36_33:                              ;   in Loop: Header=BB36_35 Depth=1
	s_or_b64 exec, exec, s[2:3]
	v_ashrrev_i32_e32 v9, 31, v15
	v_and_b32_e32 v13, s21, v9
	v_and_b32_e32 v12, s20, v9
	v_lshl_add_u64 v[12:13], v[12:13], 0, v[14:15]
	v_mov_b32_e32 v9, s21
	v_sub_co_u32_e32 v14, vcc, s20, v12
	s_nop 1
	v_subb_co_u32_e32 v9, vcc, v9, v13, vcc
	v_cmp_gt_i64_e32 vcc, s[16:17], v[12:13]
	s_nop 1
	v_cndmask_b32_e32 v13, v9, v13, vcc
	v_cndmask_b32_e32 v12, v14, v12, vcc
.LBB36_34:                              ;   in Loop: Header=BB36_35 Depth=1
	v_mul_lo_u32 v9, v11, s16
	v_mul_lo_u32 v14, v10, s17
	v_mad_u64_u32 v[10:11], s[2:3], v10, s16, 0
	v_add3_u32 v11, v11, v14, v9
	v_lshl_add_u64 v[10:11], v[10:11], 2, s[12:13]
	v_lshl_add_u64 v[10:11], v[12:13], 2, v[10:11]
	global_load_dword v9, v[10:11], off
	v_lshl_add_u64 v[2:3], v[2:3], 0, s[10:11]
	v_cmp_le_i64_e32 vcc, s[6:7], v[2:3]
	s_or_b64 s[24:25], vcc, s[24:25]
	s_waitcnt vmcnt(0)
	global_store_dword v[0:1], v9, off
	v_lshl_add_u64 v[0:1], v[0:1], 0, v[6:7]
	s_andn2_b64 exec, exec, s[24:25]
	s_cbranch_execz .LBB36_44
.LBB36_35:                              ; =>This Inner Loop Header: Depth=1
	v_or_b32_e32 v9, s9, v3
	v_cmp_ne_u64_e32 vcc, 0, v[8:9]
                                        ; implicit-def: $vgpr10_vgpr11
	s_and_saveexec_b64 s[2:3], vcc
	s_xor_b64 s[4:5], exec, s[2:3]
	s_cbranch_execnz .LBB36_38
; %bb.36:                               ;   in Loop: Header=BB36_35 Depth=1
	s_andn2_saveexec_b64 s[2:3], s[4:5]
	s_cbranch_execnz .LBB36_39
.LBB36_37:                              ;   in Loop: Header=BB36_35 Depth=1
	s_or_b64 exec, exec, s[2:3]
	s_and_b64 vcc, exec, s[0:1]
	v_mov_b64_e32 v[12:13], 0
	s_cbranch_vccnz .LBB36_34
	s_branch .LBB36_40
.LBB36_38:                              ;   in Loop: Header=BB36_35 Depth=1
	s_add_u32 s2, s8, s14
	s_mov_b32 s15, s14
	s_addc_u32 s3, s9, s14
	s_xor_b64 s[26:27], s[2:3], s[14:15]
	v_cvt_f32_u32_e32 v9, s26
	v_cvt_f32_u32_e32 v10, s27
	s_sub_u32 s15, 0, s26
	s_subb_u32 s23, 0, s27
	v_mov_b32_e32 v15, v8
	v_fmac_f32_e32 v9, 0x4f800000, v10
	v_rcp_f32_e32 v9, v9
	s_nop 0
	v_mul_f32_e32 v9, 0x5f7ffffc, v9
	v_mul_f32_e32 v10, 0x2f800000, v9
	v_trunc_f32_e32 v10, v10
	v_fmac_f32_e32 v9, 0xcf800000, v10
	v_cvt_u32_f32_e32 v10, v10
	v_cvt_u32_f32_e32 v9, v9
	v_readfirstlane_b32 s28, v10
	v_readfirstlane_b32 s2, v9
	s_mul_i32 s3, s15, s28
	s_mul_hi_u32 s30, s15, s2
	s_mul_i32 s29, s23, s2
	s_add_i32 s3, s30, s3
	s_add_i32 s3, s3, s29
	s_mul_i32 s31, s15, s2
	s_mul_i32 s30, s2, s3
	s_mul_hi_u32 s33, s2, s31
	s_mul_hi_u32 s29, s2, s3
	s_add_u32 s30, s33, s30
	s_addc_u32 s29, 0, s29
	s_mul_hi_u32 s34, s28, s31
	s_mul_i32 s31, s28, s31
	s_add_u32 s30, s30, s31
	s_mul_hi_u32 s33, s28, s3
	s_addc_u32 s29, s29, s34
	s_addc_u32 s30, s33, 0
	s_mul_i32 s3, s28, s3
	s_add_u32 s3, s29, s3
	s_addc_u32 s29, 0, s30
	s_add_u32 s30, s2, s3
	s_cselect_b64 s[2:3], -1, 0
	s_cmp_lg_u64 s[2:3], 0
	s_addc_u32 s28, s28, s29
	s_mul_i32 s2, s15, s28
	s_mul_hi_u32 s3, s15, s30
	s_add_i32 s2, s3, s2
	s_mul_i32 s23, s23, s30
	s_add_i32 s2, s2, s23
	s_mul_i32 s15, s15, s30
	s_mul_hi_u32 s23, s28, s15
	s_mul_i32 s29, s28, s15
	s_mul_i32 s33, s30, s2
	s_mul_hi_u32 s15, s30, s15
	s_mul_hi_u32 s31, s30, s2
	s_add_u32 s15, s15, s33
	s_addc_u32 s31, 0, s31
	s_add_u32 s15, s15, s29
	s_mul_hi_u32 s3, s28, s2
	s_addc_u32 s15, s31, s23
	s_addc_u32 s3, s3, 0
	s_mul_i32 s2, s28, s2
	s_add_u32 s2, s15, s2
	s_addc_u32 s15, 0, s3
	s_add_u32 s23, s30, s2
	v_ashrrev_i32_e32 v10, 31, v3
	s_cselect_b64 s[2:3], -1, 0
	v_mov_b32_e32 v11, v10
	s_cmp_lg_u64 s[2:3], 0
	v_lshl_add_u64 v[12:13], v[2:3], 0, v[10:11]
	s_addc_u32 s15, s28, s15
	v_xor_b32_e32 v11, v12, v10
	v_xor_b32_e32 v9, v13, v10
	v_mad_u64_u32 v[12:13], s[2:3], v11, s15, 0
	v_mul_hi_u32 v14, v11, s23
	v_lshl_add_u64 v[12:13], v[14:15], 0, v[12:13]
	v_mad_u64_u32 v[18:19], s[2:3], v9, s23, 0
	v_add_co_u32_e32 v12, vcc, v12, v18
	v_mad_u64_u32 v[14:15], s[2:3], v9, s15, 0
	s_nop 0
	v_addc_co_u32_e32 v12, vcc, v13, v19, vcc
	v_mov_b32_e32 v13, v8
	s_nop 0
	v_addc_co_u32_e32 v15, vcc, 0, v15, vcc
	v_lshl_add_u64 v[12:13], v[12:13], 0, v[14:15]
	v_mul_lo_u32 v17, s27, v12
	v_mul_lo_u32 v18, s26, v13
	v_mad_u64_u32 v[14:15], s[2:3], s26, v12, 0
	v_add3_u32 v17, v15, v18, v17
	v_sub_u32_e32 v15, v9, v17
	v_mov_b32_e32 v18, s27
	v_sub_co_u32_e32 v11, vcc, v11, v14
	s_nop 1
	v_subb_co_u32_e64 v14, s[2:3], v15, v18, vcc
	v_subrev_co_u32_e64 v15, s[2:3], s26, v11
	v_subb_co_u32_e32 v9, vcc, v9, v17, vcc
	s_nop 0
	v_subbrev_co_u32_e64 v14, s[2:3], 0, v14, s[2:3]
	v_cmp_le_u32_e64 s[2:3], s27, v14
	v_cmp_le_u32_e32 vcc, s27, v9
	s_nop 0
	v_cndmask_b32_e64 v18, 0, -1, s[2:3]
	v_cmp_le_u32_e64 s[2:3], s26, v15
	v_cndmask_b32_e64 v17, 0, -1, vcc
	v_cmp_le_u32_e32 vcc, s26, v11
	v_cndmask_b32_e64 v15, 0, -1, s[2:3]
	v_cmp_eq_u32_e64 s[2:3], s27, v14
	v_cndmask_b32_e64 v11, 0, -1, vcc
	v_cmp_eq_u32_e32 vcc, s27, v9
	v_cndmask_b32_e64 v20, v18, v15, s[2:3]
	v_lshl_add_u64 v[14:15], v[12:13], 0, 2
	v_lshl_add_u64 v[18:19], v[12:13], 0, 1
	v_cmp_ne_u32_e64 s[2:3], 0, v20
	v_cndmask_b32_e32 v9, v17, v11, vcc
	v_cmp_ne_u32_e32 vcc, 0, v9
	v_cndmask_b32_e64 v11, v18, v14, s[2:3]
	v_cndmask_b32_e64 v15, v19, v15, s[2:3]
	v_cndmask_b32_e32 v11, v12, v11, vcc
	v_xor_b32_e32 v12, s14, v10
	v_cndmask_b32_e32 v9, v13, v15, vcc
	v_xor_b32_e32 v10, v11, v12
	v_xor_b32_e32 v9, v9, v12
	v_sub_co_u32_e32 v10, vcc, v10, v12
	s_nop 1
	v_subb_co_u32_e32 v11, vcc, v9, v12, vcc
	s_andn2_saveexec_b64 s[2:3], s[4:5]
	s_cbranch_execz .LBB36_37
.LBB36_39:                              ;   in Loop: Header=BB36_35 Depth=1
	v_mul_hi_u32 v9, v2, v16
	v_mul_lo_u32 v10, v9, s8
	v_sub_u32_e32 v10, v2, v10
	v_subrev_u32_e32 v11, s8, v10
	v_cmp_le_u32_e32 vcc, s8, v10
	s_nop 1
	v_cndmask_b32_e32 v10, v10, v11, vcc
	v_add_u32_e32 v11, 1, v9
	v_cndmask_b32_e32 v9, v9, v11, vcc
	v_add_u32_e32 v11, 1, v9
	v_cmp_le_u32_e32 vcc, s8, v10
	s_nop 1
	v_cndmask_b32_e32 v10, v9, v11, vcc
	v_mov_b32_e32 v11, v8
	s_or_b64 exec, exec, s[2:3]
	s_and_b64 vcc, exec, s[0:1]
	v_mov_b64_e32 v[12:13], 0
	s_cbranch_vccnz .LBB36_34
.LBB36_40:                              ;   in Loop: Header=BB36_35 Depth=1
	v_lshl_add_u64 v[12:13], s[18:19], 0, v[2:3]
	v_mul_lo_u32 v9, v4, v11
	v_mul_lo_u32 v14, v5, v10
	v_mad_u64_u32 v[12:13], s[2:3], v4, v10, v[12:13]
	v_add3_u32 v13, v14, v13, v9
	v_or_b32_e32 v9, s21, v13
	v_cmp_ne_u64_e32 vcc, 0, v[8:9]
                                        ; implicit-def: $vgpr14_vgpr15
	s_and_saveexec_b64 s[2:3], vcc
	s_xor_b64 s[26:27], exec, s[2:3]
	s_cbranch_execz .LBB36_42
; %bb.41:                               ;   in Loop: Header=BB36_35 Depth=1
	s_add_u32 s2, s20, s22
	s_mov_b32 s23, s22
	s_addc_u32 s3, s21, s22
	s_xor_b64 s[28:29], s[2:3], s[22:23]
	v_cvt_f32_u32_e32 v9, s28
	v_cvt_f32_u32_e32 v14, s29
	s_sub_u32 s4, 0, s28
	s_subb_u32 s5, 0, s29
	v_ashrrev_i32_e32 v18, 31, v13
	v_fmac_f32_e32 v9, 0x4f800000, v14
	v_rcp_f32_e32 v9, v9
	v_mov_b32_e32 v19, v18
	v_lshl_add_u64 v[12:13], v[12:13], 0, v[18:19]
	v_xor_b32_e32 v17, v12, v18
	v_mul_f32_e32 v9, 0x5f7ffffc, v9
	v_mul_f32_e32 v14, 0x2f800000, v9
	v_trunc_f32_e32 v14, v14
	v_fmac_f32_e32 v9, 0xcf800000, v14
	v_cvt_u32_f32_e32 v14, v14
	v_cvt_u32_f32_e32 v9, v9
	v_mov_b32_e32 v15, v8
	v_readfirstlane_b32 s15, v14
	v_readfirstlane_b32 s2, v9
	s_mul_i32 s3, s4, s15
	s_mul_hi_u32 s30, s4, s2
	s_mul_i32 s23, s5, s2
	s_add_i32 s3, s30, s3
	s_add_i32 s3, s3, s23
	s_mul_i32 s31, s4, s2
	s_mul_i32 s30, s2, s3
	s_mul_hi_u32 s33, s2, s31
	s_mul_hi_u32 s23, s2, s3
	s_add_u32 s30, s33, s30
	s_addc_u32 s23, 0, s23
	s_mul_hi_u32 s34, s15, s31
	s_mul_i32 s31, s15, s31
	s_add_u32 s30, s30, s31
	s_mul_hi_u32 s33, s15, s3
	s_addc_u32 s23, s23, s34
	s_addc_u32 s30, s33, 0
	s_mul_i32 s3, s15, s3
	s_add_u32 s3, s23, s3
	s_addc_u32 s23, 0, s30
	s_add_u32 s30, s2, s3
	s_cselect_b64 s[2:3], -1, 0
	s_cmp_lg_u64 s[2:3], 0
	s_addc_u32 s15, s15, s23
	s_mul_i32 s2, s4, s15
	s_mul_hi_u32 s3, s4, s30
	s_add_i32 s2, s3, s2
	s_mul_i32 s5, s5, s30
	s_add_i32 s2, s2, s5
	s_mul_i32 s4, s4, s30
	s_mul_hi_u32 s5, s15, s4
	s_mul_i32 s23, s15, s4
	s_mul_i32 s33, s30, s2
	s_mul_hi_u32 s4, s30, s4
	s_mul_hi_u32 s31, s30, s2
	s_add_u32 s4, s4, s33
	s_addc_u32 s31, 0, s31
	s_add_u32 s4, s4, s23
	s_mul_hi_u32 s3, s15, s2
	s_addc_u32 s4, s31, s5
	s_addc_u32 s3, s3, 0
	s_mul_i32 s2, s15, s2
	s_add_u32 s2, s4, s2
	s_addc_u32 s4, 0, s3
	s_add_u32 s5, s30, s2
	s_cselect_b64 s[2:3], -1, 0
	s_cmp_lg_u64 s[2:3], 0
	s_addc_u32 s4, s15, s4
	v_xor_b32_e32 v9, v13, v18
	v_mad_u64_u32 v[12:13], s[2:3], v17, s4, 0
	v_mul_hi_u32 v14, v17, s5
	v_lshl_add_u64 v[12:13], v[14:15], 0, v[12:13]
	v_mad_u64_u32 v[20:21], s[2:3], v9, s5, 0
	v_add_co_u32_e32 v12, vcc, v12, v20
	v_mad_u64_u32 v[14:15], s[2:3], v9, s4, 0
	s_nop 0
	v_addc_co_u32_e32 v12, vcc, v13, v21, vcc
	v_mov_b32_e32 v13, v8
	s_nop 0
	v_addc_co_u32_e32 v15, vcc, 0, v15, vcc
	v_lshl_add_u64 v[12:13], v[12:13], 0, v[14:15]
	v_mul_lo_u32 v14, s29, v12
	v_mul_lo_u32 v15, s28, v13
	v_mad_u64_u32 v[12:13], s[2:3], s28, v12, 0
	v_add3_u32 v13, v13, v15, v14
	v_sub_u32_e32 v14, v9, v13
	v_mov_b32_e32 v15, s29
	v_sub_co_u32_e32 v12, vcc, v17, v12
	s_nop 1
	v_subb_co_u32_e64 v14, s[2:3], v14, v15, vcc
	v_subrev_co_u32_e64 v17, s[2:3], s28, v12
	v_subb_co_u32_e32 v9, vcc, v9, v13, vcc
	s_nop 0
	v_subbrev_co_u32_e64 v19, s[4:5], 0, v14, s[2:3]
	v_cmp_le_u32_e64 s[4:5], s29, v19
	v_subb_co_u32_e64 v14, s[2:3], v14, v15, s[2:3]
	s_nop 0
	v_cndmask_b32_e64 v20, 0, -1, s[4:5]
	v_cmp_le_u32_e64 s[4:5], s28, v17
	v_subrev_co_u32_e64 v15, s[2:3], s28, v17
	s_nop 0
	v_cndmask_b32_e64 v21, 0, -1, s[4:5]
	v_cmp_eq_u32_e64 s[4:5], s29, v19
	v_subbrev_co_u32_e64 v14, s[2:3], 0, v14, s[2:3]
	s_nop 0
	v_cndmask_b32_e64 v20, v20, v21, s[4:5]
	v_cmp_le_u32_e32 vcc, s29, v9
	v_cmp_ne_u32_e64 s[2:3], 0, v20
	s_nop 0
	v_cndmask_b32_e64 v13, 0, -1, vcc
	v_cmp_le_u32_e32 vcc, s28, v12
	v_cndmask_b32_e64 v14, v19, v14, s[2:3]
	s_nop 0
	v_cndmask_b32_e64 v19, 0, -1, vcc
	v_cmp_eq_u32_e32 vcc, s29, v9
	s_nop 1
	v_cndmask_b32_e32 v13, v13, v19, vcc
	v_cmp_ne_u32_e32 vcc, 0, v13
	v_cndmask_b32_e64 v13, v17, v15, s[2:3]
	s_nop 0
	v_cndmask_b32_e32 v12, v12, v13, vcc
	v_cndmask_b32_e32 v9, v9, v14, vcc
	v_xor_b32_e32 v12, v12, v18
	v_xor_b32_e32 v9, v9, v18
	v_sub_co_u32_e32 v14, vcc, v12, v18
                                        ; implicit-def: $vgpr12_vgpr13
	s_nop 1
	v_subb_co_u32_e32 v15, vcc, v9, v18, vcc
.LBB36_42:                              ;   in Loop: Header=BB36_35 Depth=1
	s_andn2_saveexec_b64 s[2:3], s[26:27]
	s_cbranch_execz .LBB36_33
; %bb.43:                               ;   in Loop: Header=BB36_35 Depth=1
	v_cvt_f32_u32_e32 v9, s20
	s_sub_i32 s4, 0, s20
	v_mov_b32_e32 v15, v8
	v_rcp_iflag_f32_e32 v9, v9
	s_nop 0
	v_mul_f32_e32 v9, 0x4f7ffffe, v9
	v_cvt_u32_f32_e32 v9, v9
	v_mul_lo_u32 v13, s4, v9
	v_mul_hi_u32 v13, v9, v13
	v_add_u32_e32 v9, v9, v13
	v_mul_hi_u32 v9, v12, v9
	v_mul_lo_u32 v9, v9, s20
	v_sub_u32_e32 v9, v12, v9
	v_subrev_u32_e32 v12, s20, v9
	v_cmp_le_u32_e32 vcc, s20, v9
	s_nop 1
	v_cndmask_b32_e32 v9, v9, v12, vcc
	v_subrev_u32_e32 v12, s20, v9
	v_cmp_le_u32_e32 vcc, s20, v9
	s_nop 1
	v_cndmask_b32_e32 v14, v9, v12, vcc
	s_branch .LBB36_33
.LBB36_44:
	s_endpgm
	.section	.rodata,"a",@progbits
	.p2align	6, 0x0
	.amdhsa_kernel _ZN2at6native12_GLOBAL__N_121reflection_pad1d_flatIfEEvPKT_PS3_lllll
		.amdhsa_group_segment_fixed_size 0
		.amdhsa_private_segment_fixed_size 0
		.amdhsa_kernarg_size 312
		.amdhsa_user_sgpr_count 2
		.amdhsa_user_sgpr_dispatch_ptr 0
		.amdhsa_user_sgpr_queue_ptr 0
		.amdhsa_user_sgpr_kernarg_segment_ptr 1
		.amdhsa_user_sgpr_dispatch_id 0
		.amdhsa_user_sgpr_kernarg_preload_length 0
		.amdhsa_user_sgpr_kernarg_preload_offset 0
		.amdhsa_user_sgpr_private_segment_size 0
		.amdhsa_uses_dynamic_stack 0
		.amdhsa_enable_private_segment 0
		.amdhsa_system_sgpr_workgroup_id_x 1
		.amdhsa_system_sgpr_workgroup_id_y 0
		.amdhsa_system_sgpr_workgroup_id_z 0
		.amdhsa_system_sgpr_workgroup_info 0
		.amdhsa_system_vgpr_workitem_id 0
		.amdhsa_next_free_vgpr 33
		.amdhsa_next_free_sgpr 64
		.amdhsa_accum_offset 36
		.amdhsa_reserve_vcc 1
		.amdhsa_float_round_mode_32 0
		.amdhsa_float_round_mode_16_64 0
		.amdhsa_float_denorm_mode_32 3
		.amdhsa_float_denorm_mode_16_64 3
		.amdhsa_dx10_clamp 1
		.amdhsa_ieee_mode 1
		.amdhsa_fp16_overflow 0
		.amdhsa_tg_split 0
		.amdhsa_exception_fp_ieee_invalid_op 0
		.amdhsa_exception_fp_denorm_src 0
		.amdhsa_exception_fp_ieee_div_zero 0
		.amdhsa_exception_fp_ieee_overflow 0
		.amdhsa_exception_fp_ieee_underflow 0
		.amdhsa_exception_fp_ieee_inexact 0
		.amdhsa_exception_int_div_zero 0
	.end_amdhsa_kernel
	.section	.text._ZN2at6native12_GLOBAL__N_121reflection_pad1d_flatIfEEvPKT_PS3_lllll,"axG",@progbits,_ZN2at6native12_GLOBAL__N_121reflection_pad1d_flatIfEEvPKT_PS3_lllll,comdat
.Lfunc_end36:
	.size	_ZN2at6native12_GLOBAL__N_121reflection_pad1d_flatIfEEvPKT_PS3_lllll, .Lfunc_end36-_ZN2at6native12_GLOBAL__N_121reflection_pad1d_flatIfEEvPKT_PS3_lllll
                                        ; -- End function
	.set _ZN2at6native12_GLOBAL__N_121reflection_pad1d_flatIfEEvPKT_PS3_lllll.num_vgpr, 33
	.set _ZN2at6native12_GLOBAL__N_121reflection_pad1d_flatIfEEvPKT_PS3_lllll.num_agpr, 0
	.set _ZN2at6native12_GLOBAL__N_121reflection_pad1d_flatIfEEvPKT_PS3_lllll.numbered_sgpr, 64
	.set _ZN2at6native12_GLOBAL__N_121reflection_pad1d_flatIfEEvPKT_PS3_lllll.num_named_barrier, 0
	.set _ZN2at6native12_GLOBAL__N_121reflection_pad1d_flatIfEEvPKT_PS3_lllll.private_seg_size, 0
	.set _ZN2at6native12_GLOBAL__N_121reflection_pad1d_flatIfEEvPKT_PS3_lllll.uses_vcc, 1
	.set _ZN2at6native12_GLOBAL__N_121reflection_pad1d_flatIfEEvPKT_PS3_lllll.uses_flat_scratch, 0
	.set _ZN2at6native12_GLOBAL__N_121reflection_pad1d_flatIfEEvPKT_PS3_lllll.has_dyn_sized_stack, 0
	.set _ZN2at6native12_GLOBAL__N_121reflection_pad1d_flatIfEEvPKT_PS3_lllll.has_recursion, 0
	.set _ZN2at6native12_GLOBAL__N_121reflection_pad1d_flatIfEEvPKT_PS3_lllll.has_indirect_call, 0
	.section	.AMDGPU.csdata,"",@progbits
; Kernel info:
; codeLenInByte = 6684
; TotalNumSgprs: 70
; NumVgprs: 33
; NumAgprs: 0
; TotalNumVgprs: 33
; ScratchSize: 0
; MemoryBound: 0
; FloatMode: 240
; IeeeMode: 1
; LDSByteSize: 0 bytes/workgroup (compile time only)
; SGPRBlocks: 8
; VGPRBlocks: 4
; NumSGPRsForWavesPerEU: 70
; NumVGPRsForWavesPerEU: 33
; AccumOffset: 36
; Occupancy: 8
; WaveLimiterHint : 0
; COMPUTE_PGM_RSRC2:SCRATCH_EN: 0
; COMPUTE_PGM_RSRC2:USER_SGPR: 2
; COMPUTE_PGM_RSRC2:TRAP_HANDLER: 0
; COMPUTE_PGM_RSRC2:TGID_X_EN: 1
; COMPUTE_PGM_RSRC2:TGID_Y_EN: 0
; COMPUTE_PGM_RSRC2:TGID_Z_EN: 0
; COMPUTE_PGM_RSRC2:TIDIG_COMP_CNT: 0
; COMPUTE_PGM_RSRC3_GFX90A:ACCUM_OFFSET: 8
; COMPUTE_PGM_RSRC3_GFX90A:TG_SPLIT: 0
	.section	.text._ZN2at6native12_GLOBAL__N_127reflection_pad1d_out_kernelIN3c107complexIdEEEEvPKT_PS6_lll,"axG",@progbits,_ZN2at6native12_GLOBAL__N_127reflection_pad1d_out_kernelIN3c107complexIdEEEEvPKT_PS6_lll,comdat
	.globl	_ZN2at6native12_GLOBAL__N_127reflection_pad1d_out_kernelIN3c107complexIdEEEEvPKT_PS6_lll ; -- Begin function _ZN2at6native12_GLOBAL__N_127reflection_pad1d_out_kernelIN3c107complexIdEEEEvPKT_PS6_lll
	.p2align	8
	.type	_ZN2at6native12_GLOBAL__N_127reflection_pad1d_out_kernelIN3c107complexIdEEEEvPKT_PS6_lll,@function
_ZN2at6native12_GLOBAL__N_127reflection_pad1d_out_kernelIN3c107complexIdEEEEvPKT_PS6_lll: ; @_ZN2at6native12_GLOBAL__N_127reflection_pad1d_out_kernelIN3c107complexIdEEEEvPKT_PS6_lll
; %bb.0:
	s_load_dword s5, s[0:1], 0x34
	s_load_dwordx2 s[16:17], s[0:1], 0x20
	s_load_dwordx8 s[8:15], s[0:1], 0x0
	s_add_u32 s6, s0, 40
	s_addc_u32 s7, s1, 0
	s_waitcnt lgkmcnt(0)
	s_and_b32 s0, s5, 0xffff
	v_mov_b32_e32 v1, 0
	v_mov_b32_e32 v2, s2
	s_add_u32 s2, s14, s12
	v_mad_u64_u32 v[0:1], s[0:1], s0, v2, v[0:1]
	s_addc_u32 s5, s15, s13
	s_add_u32 s0, s2, s16
	s_addc_u32 s1, s5, s17
	v_cmp_gt_i64_e32 vcc, s[0:1], v[0:1]
	s_and_saveexec_b64 s[16:17], vcc
	s_cbranch_execz .LBB37_2
; %bb.1:
	s_load_dword s16, s[6:7], 0x4
	s_sub_u32 s6, 0, s14
	v_mov_b32_e32 v4, s15
	v_subrev_co_u32_e32 v5, vcc, s14, v0
	s_waitcnt lgkmcnt(0)
	s_mul_i32 s4, s16, s4
	s_subb_u32 s7, 0, s15
	s_add_i32 s4, s4, s3
	v_subb_co_u32_e32 v4, vcc, v1, v4, vcc
	v_mov_b32_e32 v2, s8
	s_mul_i32 s3, s13, s4
	s_mul_hi_u32 s8, s12, s4
	v_ashrrev_i32_e32 v6, 31, v4
	v_mov_b32_e32 v3, s9
	s_add_i32 s9, s8, s3
	s_mul_i32 s1, s1, s4
	s_mul_hi_u32 s3, s0, s4
	v_xor_b32_e32 v7, v4, v6
	v_xor_b32_e32 v4, v5, v6
	s_mul_i32 s8, s12, s4
	s_add_i32 s1, s3, s1
	v_cmp_gt_i64_e64 s[12:13], s[6:7], 0
	v_sub_co_u32_e32 v4, vcc, v4, v6
	s_and_b64 s[12:13], s[12:13], exec
	s_nop 0
	v_subb_co_u32_e32 v5, vcc, v7, v6, vcc
	s_cselect_b32 s12, s7, 0
	s_cselect_b32 s13, s6, 0
	v_cmp_gt_i64_e64 s[6:7], s[14:15], 0
	v_mov_b32_e32 v7, s5
	v_subrev_co_u32_e32 v6, vcc, s2, v0
	s_and_b64 s[6:7], s[6:7], exec
	s_nop 0
	v_subb_co_u32_e32 v7, vcc, v1, v7, vcc
	s_cselect_b32 s7, s15, 0
	s_cselect_b32 s6, s14, 0
	v_lshl_add_u64 v[6:7], v[6:7], 0, 1
	s_add_u32 s14, s2, s14
	v_ashrrev_i32_e32 v8, 31, v7
	s_addc_u32 s5, s5, s15
	s_not_b64 s[2:3], s[6:7]
	v_xor_b32_e32 v6, v6, v8
	s_add_u32 s2, s14, s2
	v_xor_b32_e32 v7, v7, v8
	v_sub_co_u32_e32 v6, vcc, v6, v8
	s_addc_u32 s3, s5, s3
	s_nop 0
	v_subb_co_u32_e32 v7, vcc, v7, v8, vcc
	s_add_u32 s2, s2, s13
	v_lshl_add_u64 v[6:7], v[0:1], 0, v[6:7]
	s_addc_u32 s3, s3, s12
	v_mov_b32_e32 v8, s3
	v_sub_co_u32_e32 v6, vcc, s2, v6
	s_mul_i32 s0, s0, s4
	s_nop 0
	v_subb_co_u32_e32 v7, vcc, v8, v7, vcc
	v_lshl_add_u64 v[2:3], v[6:7], 4, v[2:3]
	v_lshl_add_u64 v[2:3], v[4:5], 4, v[2:3]
	;; [unrolled: 1-line block ×3, first 2 shown]
	global_load_dwordx4 v[2:5], v[2:3], off
	s_lshl_b64 s[0:1], s[0:1], 4
	s_add_u32 s0, s10, s0
	s_addc_u32 s1, s11, s1
	v_lshl_add_u64 v[0:1], v[0:1], 4, s[0:1]
	s_waitcnt vmcnt(0)
	global_store_dwordx4 v[0:1], v[2:5], off
.LBB37_2:
	s_endpgm
	.section	.rodata,"a",@progbits
	.p2align	6, 0x0
	.amdhsa_kernel _ZN2at6native12_GLOBAL__N_127reflection_pad1d_out_kernelIN3c107complexIdEEEEvPKT_PS6_lll
		.amdhsa_group_segment_fixed_size 0
		.amdhsa_private_segment_fixed_size 0
		.amdhsa_kernarg_size 296
		.amdhsa_user_sgpr_count 2
		.amdhsa_user_sgpr_dispatch_ptr 0
		.amdhsa_user_sgpr_queue_ptr 0
		.amdhsa_user_sgpr_kernarg_segment_ptr 1
		.amdhsa_user_sgpr_dispatch_id 0
		.amdhsa_user_sgpr_kernarg_preload_length 0
		.amdhsa_user_sgpr_kernarg_preload_offset 0
		.amdhsa_user_sgpr_private_segment_size 0
		.amdhsa_uses_dynamic_stack 0
		.amdhsa_enable_private_segment 0
		.amdhsa_system_sgpr_workgroup_id_x 1
		.amdhsa_system_sgpr_workgroup_id_y 1
		.amdhsa_system_sgpr_workgroup_id_z 1
		.amdhsa_system_sgpr_workgroup_info 0
		.amdhsa_system_vgpr_workitem_id 0
		.amdhsa_next_free_vgpr 9
		.amdhsa_next_free_sgpr 18
		.amdhsa_accum_offset 12
		.amdhsa_reserve_vcc 1
		.amdhsa_float_round_mode_32 0
		.amdhsa_float_round_mode_16_64 0
		.amdhsa_float_denorm_mode_32 3
		.amdhsa_float_denorm_mode_16_64 3
		.amdhsa_dx10_clamp 1
		.amdhsa_ieee_mode 1
		.amdhsa_fp16_overflow 0
		.amdhsa_tg_split 0
		.amdhsa_exception_fp_ieee_invalid_op 0
		.amdhsa_exception_fp_denorm_src 0
		.amdhsa_exception_fp_ieee_div_zero 0
		.amdhsa_exception_fp_ieee_overflow 0
		.amdhsa_exception_fp_ieee_underflow 0
		.amdhsa_exception_fp_ieee_inexact 0
		.amdhsa_exception_int_div_zero 0
	.end_amdhsa_kernel
	.section	.text._ZN2at6native12_GLOBAL__N_127reflection_pad1d_out_kernelIN3c107complexIdEEEEvPKT_PS6_lll,"axG",@progbits,_ZN2at6native12_GLOBAL__N_127reflection_pad1d_out_kernelIN3c107complexIdEEEEvPKT_PS6_lll,comdat
.Lfunc_end37:
	.size	_ZN2at6native12_GLOBAL__N_127reflection_pad1d_out_kernelIN3c107complexIdEEEEvPKT_PS6_lll, .Lfunc_end37-_ZN2at6native12_GLOBAL__N_127reflection_pad1d_out_kernelIN3c107complexIdEEEEvPKT_PS6_lll
                                        ; -- End function
	.set _ZN2at6native12_GLOBAL__N_127reflection_pad1d_out_kernelIN3c107complexIdEEEEvPKT_PS6_lll.num_vgpr, 9
	.set _ZN2at6native12_GLOBAL__N_127reflection_pad1d_out_kernelIN3c107complexIdEEEEvPKT_PS6_lll.num_agpr, 0
	.set _ZN2at6native12_GLOBAL__N_127reflection_pad1d_out_kernelIN3c107complexIdEEEEvPKT_PS6_lll.numbered_sgpr, 18
	.set _ZN2at6native12_GLOBAL__N_127reflection_pad1d_out_kernelIN3c107complexIdEEEEvPKT_PS6_lll.num_named_barrier, 0
	.set _ZN2at6native12_GLOBAL__N_127reflection_pad1d_out_kernelIN3c107complexIdEEEEvPKT_PS6_lll.private_seg_size, 0
	.set _ZN2at6native12_GLOBAL__N_127reflection_pad1d_out_kernelIN3c107complexIdEEEEvPKT_PS6_lll.uses_vcc, 1
	.set _ZN2at6native12_GLOBAL__N_127reflection_pad1d_out_kernelIN3c107complexIdEEEEvPKT_PS6_lll.uses_flat_scratch, 0
	.set _ZN2at6native12_GLOBAL__N_127reflection_pad1d_out_kernelIN3c107complexIdEEEEvPKT_PS6_lll.has_dyn_sized_stack, 0
	.set _ZN2at6native12_GLOBAL__N_127reflection_pad1d_out_kernelIN3c107complexIdEEEEvPKT_PS6_lll.has_recursion, 0
	.set _ZN2at6native12_GLOBAL__N_127reflection_pad1d_out_kernelIN3c107complexIdEEEEvPKT_PS6_lll.has_indirect_call, 0
	.section	.AMDGPU.csdata,"",@progbits
; Kernel info:
; codeLenInByte = 400
; TotalNumSgprs: 24
; NumVgprs: 9
; NumAgprs: 0
; TotalNumVgprs: 9
; ScratchSize: 0
; MemoryBound: 0
; FloatMode: 240
; IeeeMode: 1
; LDSByteSize: 0 bytes/workgroup (compile time only)
; SGPRBlocks: 2
; VGPRBlocks: 1
; NumSGPRsForWavesPerEU: 24
; NumVGPRsForWavesPerEU: 9
; AccumOffset: 12
; Occupancy: 8
; WaveLimiterHint : 0
; COMPUTE_PGM_RSRC2:SCRATCH_EN: 0
; COMPUTE_PGM_RSRC2:USER_SGPR: 2
; COMPUTE_PGM_RSRC2:TRAP_HANDLER: 0
; COMPUTE_PGM_RSRC2:TGID_X_EN: 1
; COMPUTE_PGM_RSRC2:TGID_Y_EN: 1
; COMPUTE_PGM_RSRC2:TGID_Z_EN: 1
; COMPUTE_PGM_RSRC2:TIDIG_COMP_CNT: 0
; COMPUTE_PGM_RSRC3_GFX90A:ACCUM_OFFSET: 2
; COMPUTE_PGM_RSRC3_GFX90A:TG_SPLIT: 0
	.section	.text._ZN2at6native12_GLOBAL__N_121reflection_pad1d_flatIN3c107complexIdEEEEvPKT_PS6_lllll,"axG",@progbits,_ZN2at6native12_GLOBAL__N_121reflection_pad1d_flatIN3c107complexIdEEEEvPKT_PS6_lllll,comdat
	.globl	_ZN2at6native12_GLOBAL__N_121reflection_pad1d_flatIN3c107complexIdEEEEvPKT_PS6_lllll ; -- Begin function _ZN2at6native12_GLOBAL__N_121reflection_pad1d_flatIN3c107complexIdEEEEvPKT_PS6_lllll
	.p2align	8
	.type	_ZN2at6native12_GLOBAL__N_121reflection_pad1d_flatIN3c107complexIdEEEEvPKT_PS6_lllll,@function
_ZN2at6native12_GLOBAL__N_121reflection_pad1d_flatIN3c107complexIdEEEEvPKT_PS6_lllll: ; @_ZN2at6native12_GLOBAL__N_121reflection_pad1d_flatIN3c107complexIdEEEEvPKT_PS6_lllll
; %bb.0:
	s_load_dword s3, s[0:1], 0x44
	s_load_dwordx4 s[12:15], s[0:1], 0x28
	s_add_u32 s16, s0, 56
	v_mov_b32_e32 v2, 0
	s_addc_u32 s17, s1, 0
	s_waitcnt lgkmcnt(0)
	s_and_b32 s3, s3, 0xffff
	s_mul_i32 s4, s14, s13
	s_mul_hi_u32 s5, s14, s12
	v_mov_b32_e32 v1, v2
	s_add_i32 s4, s5, s4
	s_mul_i32 s5, s15, s12
	v_mov_b32_e32 v3, s2
	s_add_i32 s15, s4, s5
	s_mul_i32 s14, s14, s12
	v_mad_u64_u32 v[0:1], s[4:5], s3, v3, v[0:1]
	v_cmp_gt_i64_e32 vcc, s[14:15], v[0:1]
	s_and_saveexec_b64 s[4:5], vcc
	s_cbranch_execz .LBB38_13
; %bb.1:
	v_cvt_f32_u32_e32 v3, s12
	s_load_dword s2, s[16:17], 0x0
	s_load_dwordx8 s[4:11], s[0:1], 0x0
	s_mov_b64 s[16:17], 0
	v_rcp_iflag_f32_e32 v3, v3
	s_waitcnt lgkmcnt(0)
	s_mul_hi_u32 s19, s3, s2
	s_lshl_b64 s[0:1], s[8:9], 1
	s_add_u32 s20, s0, -2
	s_addc_u32 s21, s1, -1
	v_mul_f32_e32 v3, 0x4f7ffffe, v3
	s_sub_u32 s30, 0, s12
	v_cvt_u32_f32_e32 v12, v3
	s_subb_u32 s31, 0, s13
	s_mul_i32 s18, s3, s2
	s_sub_u32 s10, 0, s10
	s_subb_u32 s11, 0, s11
	v_lshl_add_u64 v[4:5], v[0:1], 4, s[6:7]
	s_lshl_b64 s[6:7], s[18:19], 4
	s_ashr_i32 s22, s13, 31
	v_cmp_gt_i64_e64 s[24:25], s[20:21], 0
	s_branch .LBB38_4
.LBB38_2:                               ;   in Loop: Header=BB38_4 Depth=1
	s_or_b64 exec, exec, s[0:1]
	v_ashrrev_i32_e32 v3, 31, v11
	v_and_b32_e32 v9, s21, v3
	v_and_b32_e32 v8, s20, v3
	v_lshl_add_u64 v[8:9], v[8:9], 0, v[10:11]
	v_mov_b32_e32 v3, s21
	v_sub_co_u32_e32 v10, vcc, s20, v8
	s_nop 1
	v_subb_co_u32_e32 v3, vcc, v3, v9, vcc
	v_cmp_gt_i64_e32 vcc, s[8:9], v[8:9]
	s_nop 1
	v_cndmask_b32_e32 v9, v3, v9, vcc
	v_cndmask_b32_e32 v8, v10, v8, vcc
.LBB38_3:                               ;   in Loop: Header=BB38_4 Depth=1
	v_mul_lo_u32 v3, v7, s8
	v_mul_lo_u32 v10, v6, s9
	v_mad_u64_u32 v[6:7], s[0:1], v6, s8, 0
	v_add3_u32 v7, v7, v10, v3
	v_lshl_add_u64 v[6:7], v[6:7], 4, s[4:5]
	v_lshl_add_u64 v[6:7], v[8:9], 4, v[6:7]
	global_load_dwordx4 v[6:9], v[6:7], off
	v_lshl_add_u64 v[0:1], v[0:1], 0, s[18:19]
	v_cmp_le_i64_e32 vcc, s[14:15], v[0:1]
	s_or_b64 s[16:17], vcc, s[16:17]
	s_waitcnt vmcnt(0)
	global_store_dwordx4 v[4:5], v[6:9], off
	v_lshl_add_u64 v[4:5], v[4:5], 0, s[6:7]
	s_andn2_b64 exec, exec, s[16:17]
	s_cbranch_execz .LBB38_13
.LBB38_4:                               ; =>This Inner Loop Header: Depth=1
	v_or_b32_e32 v3, s13, v1
	v_cmp_ne_u64_e32 vcc, 0, v[2:3]
                                        ; implicit-def: $vgpr6_vgpr7
	s_and_saveexec_b64 s[0:1], vcc
	s_xor_b64 s[2:3], exec, s[0:1]
	s_cbranch_execnz .LBB38_7
; %bb.5:                                ;   in Loop: Header=BB38_4 Depth=1
	s_andn2_saveexec_b64 s[0:1], s[2:3]
	s_cbranch_execnz .LBB38_8
.LBB38_6:                               ;   in Loop: Header=BB38_4 Depth=1
	s_or_b64 exec, exec, s[0:1]
	s_andn2_b64 vcc, exec, s[24:25]
	v_mov_b64_e32 v[8:9], 0
	s_cbranch_vccnz .LBB38_3
	s_branch .LBB38_9
.LBB38_7:                               ;   in Loop: Header=BB38_4 Depth=1
	s_add_u32 s0, s12, s22
	s_mov_b32 s23, s22
	s_addc_u32 s1, s13, s22
	s_xor_b64 s[26:27], s[0:1], s[22:23]
	v_cvt_f32_u32_e32 v3, s26
	v_cvt_f32_u32_e32 v6, s27
	s_sub_u32 s23, 0, s26
	s_subb_u32 s28, 0, s27
	v_mov_b32_e32 v11, v2
	v_fmac_f32_e32 v3, 0x4f800000, v6
	v_rcp_f32_e32 v3, v3
	s_nop 0
	v_mul_f32_e32 v3, 0x5f7ffffc, v3
	v_mul_f32_e32 v6, 0x2f800000, v3
	v_trunc_f32_e32 v6, v6
	v_fmac_f32_e32 v3, 0xcf800000, v6
	v_cvt_u32_f32_e32 v6, v6
	v_cvt_u32_f32_e32 v3, v3
	v_readfirstlane_b32 s29, v6
	v_readfirstlane_b32 s0, v3
	s_mul_i32 s1, s23, s29
	s_mul_hi_u32 s34, s23, s0
	s_mul_i32 s33, s28, s0
	s_add_i32 s1, s34, s1
	s_add_i32 s1, s1, s33
	s_mul_i32 s35, s23, s0
	s_mul_i32 s34, s0, s1
	s_mul_hi_u32 s36, s0, s35
	s_mul_hi_u32 s33, s0, s1
	s_add_u32 s34, s36, s34
	s_addc_u32 s33, 0, s33
	s_mul_hi_u32 s37, s29, s35
	s_mul_i32 s35, s29, s35
	s_add_u32 s34, s34, s35
	s_mul_hi_u32 s36, s29, s1
	s_addc_u32 s33, s33, s37
	s_addc_u32 s34, s36, 0
	s_mul_i32 s1, s29, s1
	s_add_u32 s1, s33, s1
	s_addc_u32 s33, 0, s34
	s_add_u32 s34, s0, s1
	s_cselect_b64 s[0:1], -1, 0
	s_cmp_lg_u64 s[0:1], 0
	s_addc_u32 s29, s29, s33
	s_mul_i32 s0, s23, s29
	s_mul_hi_u32 s1, s23, s34
	s_add_i32 s0, s1, s0
	s_mul_i32 s28, s28, s34
	s_add_i32 s0, s0, s28
	s_mul_i32 s23, s23, s34
	s_mul_hi_u32 s28, s29, s23
	s_mul_i32 s33, s29, s23
	s_mul_i32 s36, s34, s0
	s_mul_hi_u32 s23, s34, s23
	s_mul_hi_u32 s35, s34, s0
	s_add_u32 s23, s23, s36
	s_addc_u32 s35, 0, s35
	s_add_u32 s23, s23, s33
	s_mul_hi_u32 s1, s29, s0
	s_addc_u32 s23, s35, s28
	s_addc_u32 s1, s1, 0
	s_mul_i32 s0, s29, s0
	s_add_u32 s0, s23, s0
	s_addc_u32 s23, 0, s1
	s_add_u32 s28, s34, s0
	v_ashrrev_i32_e32 v6, 31, v1
	s_cselect_b64 s[0:1], -1, 0
	v_mov_b32_e32 v7, v6
	s_cmp_lg_u64 s[0:1], 0
	v_lshl_add_u64 v[8:9], v[0:1], 0, v[6:7]
	s_addc_u32 s23, s29, s23
	v_xor_b32_e32 v7, v8, v6
	v_xor_b32_e32 v3, v9, v6
	v_mad_u64_u32 v[8:9], s[0:1], v7, s23, 0
	v_mul_hi_u32 v10, v7, s28
	v_lshl_add_u64 v[8:9], v[10:11], 0, v[8:9]
	v_mad_u64_u32 v[14:15], s[0:1], v3, s28, 0
	v_add_co_u32_e32 v8, vcc, v8, v14
	v_mad_u64_u32 v[10:11], s[0:1], v3, s23, 0
	s_nop 0
	v_addc_co_u32_e32 v8, vcc, v9, v15, vcc
	v_mov_b32_e32 v9, v2
	s_nop 0
	v_addc_co_u32_e32 v11, vcc, 0, v11, vcc
	v_lshl_add_u64 v[8:9], v[8:9], 0, v[10:11]
	v_mul_lo_u32 v13, s27, v8
	v_mul_lo_u32 v14, s26, v9
	v_mad_u64_u32 v[10:11], s[0:1], s26, v8, 0
	v_add3_u32 v13, v11, v14, v13
	v_sub_u32_e32 v11, v3, v13
	v_mov_b32_e32 v14, s27
	v_sub_co_u32_e32 v7, vcc, v7, v10
	s_nop 1
	v_subb_co_u32_e64 v10, s[0:1], v11, v14, vcc
	v_subrev_co_u32_e64 v11, s[0:1], s26, v7
	v_subb_co_u32_e32 v3, vcc, v3, v13, vcc
	s_nop 0
	v_subbrev_co_u32_e64 v10, s[0:1], 0, v10, s[0:1]
	v_cmp_le_u32_e64 s[0:1], s27, v10
	v_cmp_le_u32_e32 vcc, s27, v3
	s_nop 0
	v_cndmask_b32_e64 v14, 0, -1, s[0:1]
	v_cmp_le_u32_e64 s[0:1], s26, v11
	v_cndmask_b32_e64 v13, 0, -1, vcc
	v_cmp_le_u32_e32 vcc, s26, v7
	v_cndmask_b32_e64 v11, 0, -1, s[0:1]
	v_cmp_eq_u32_e64 s[0:1], s27, v10
	v_cndmask_b32_e64 v7, 0, -1, vcc
	v_cmp_eq_u32_e32 vcc, s27, v3
	v_cndmask_b32_e64 v16, v14, v11, s[0:1]
	v_lshl_add_u64 v[10:11], v[8:9], 0, 2
	v_lshl_add_u64 v[14:15], v[8:9], 0, 1
	v_cmp_ne_u32_e64 s[0:1], 0, v16
	v_cndmask_b32_e32 v3, v13, v7, vcc
	v_cmp_ne_u32_e32 vcc, 0, v3
	v_cndmask_b32_e64 v7, v14, v10, s[0:1]
	v_cndmask_b32_e64 v11, v15, v11, s[0:1]
	v_cndmask_b32_e32 v7, v8, v7, vcc
	v_xor_b32_e32 v8, s22, v6
	v_cndmask_b32_e32 v3, v9, v11, vcc
	v_xor_b32_e32 v6, v7, v8
	v_xor_b32_e32 v3, v3, v8
	v_sub_co_u32_e32 v6, vcc, v6, v8
	s_nop 1
	v_subb_co_u32_e32 v7, vcc, v3, v8, vcc
	s_andn2_saveexec_b64 s[0:1], s[2:3]
	s_cbranch_execz .LBB38_6
.LBB38_8:                               ;   in Loop: Header=BB38_4 Depth=1
	s_sub_i32 s2, 0, s12
	v_mul_lo_u32 v3, s2, v12
	v_mul_hi_u32 v3, v12, v3
	v_add_u32_e32 v3, v12, v3
	v_mul_hi_u32 v3, v0, v3
	v_mul_lo_u32 v6, v3, s12
	v_sub_u32_e32 v6, v0, v6
	v_subrev_u32_e32 v7, s12, v6
	v_cmp_le_u32_e32 vcc, s12, v6
	s_nop 1
	v_cndmask_b32_e32 v6, v6, v7, vcc
	v_add_u32_e32 v7, 1, v3
	v_cndmask_b32_e32 v3, v3, v7, vcc
	v_add_u32_e32 v7, 1, v3
	v_cmp_le_u32_e32 vcc, s12, v6
	s_nop 1
	v_cndmask_b32_e32 v6, v3, v7, vcc
	v_mov_b32_e32 v7, v2
	s_or_b64 exec, exec, s[0:1]
	s_andn2_b64 vcc, exec, s[24:25]
	v_mov_b64_e32 v[8:9], 0
	s_cbranch_vccnz .LBB38_3
.LBB38_9:                               ;   in Loop: Header=BB38_4 Depth=1
	v_lshl_add_u64 v[8:9], s[10:11], 0, v[0:1]
	v_mul_lo_u32 v3, s30, v7
	v_mul_lo_u32 v10, s31, v6
	v_mad_u64_u32 v[8:9], s[0:1], s30, v6, v[8:9]
	v_add3_u32 v9, v10, v9, v3
	v_or_b32_e32 v3, s21, v9
	v_cmp_ne_u64_e32 vcc, 0, v[2:3]
                                        ; implicit-def: $vgpr10_vgpr11
	s_and_saveexec_b64 s[0:1], vcc
	s_xor_b64 s[26:27], exec, s[0:1]
	s_cbranch_execz .LBB38_11
; %bb.10:                               ;   in Loop: Header=BB38_4 Depth=1
	s_ashr_i32 s0, s21, 31
	s_add_u32 s2, s20, s0
	s_mov_b32 s1, s0
	s_addc_u32 s3, s21, s0
	s_xor_b64 s[28:29], s[2:3], s[0:1]
	v_cvt_f32_u32_e32 v3, s28
	v_cvt_f32_u32_e32 v10, s29
	s_sub_u32 s2, 0, s28
	s_subb_u32 s3, 0, s29
	v_ashrrev_i32_e32 v14, 31, v9
	v_fmac_f32_e32 v3, 0x4f800000, v10
	v_rcp_f32_e32 v3, v3
	v_mov_b32_e32 v15, v14
	v_lshl_add_u64 v[8:9], v[8:9], 0, v[14:15]
	v_xor_b32_e32 v13, v8, v14
	v_mul_f32_e32 v3, 0x5f7ffffc, v3
	v_mul_f32_e32 v10, 0x2f800000, v3
	v_trunc_f32_e32 v10, v10
	v_fmac_f32_e32 v3, 0xcf800000, v10
	v_cvt_u32_f32_e32 v10, v10
	v_cvt_u32_f32_e32 v3, v3
	v_mov_b32_e32 v11, v2
	v_readfirstlane_b32 s23, v10
	v_readfirstlane_b32 s0, v3
	s_mul_i32 s1, s2, s23
	s_mul_hi_u32 s34, s2, s0
	s_mul_i32 s33, s3, s0
	s_add_i32 s1, s34, s1
	s_add_i32 s1, s1, s33
	s_mul_i32 s35, s2, s0
	s_mul_i32 s34, s0, s1
	s_mul_hi_u32 s36, s0, s35
	s_mul_hi_u32 s33, s0, s1
	s_add_u32 s34, s36, s34
	s_addc_u32 s33, 0, s33
	s_mul_hi_u32 s37, s23, s35
	s_mul_i32 s35, s23, s35
	s_add_u32 s34, s34, s35
	s_mul_hi_u32 s36, s23, s1
	s_addc_u32 s33, s33, s37
	s_addc_u32 s34, s36, 0
	s_mul_i32 s1, s23, s1
	s_add_u32 s1, s33, s1
	s_addc_u32 s33, 0, s34
	s_add_u32 s34, s0, s1
	s_cselect_b64 s[0:1], -1, 0
	s_cmp_lg_u64 s[0:1], 0
	s_addc_u32 s23, s23, s33
	s_mul_i32 s0, s2, s23
	s_mul_hi_u32 s1, s2, s34
	s_add_i32 s0, s1, s0
	s_mul_i32 s3, s3, s34
	s_add_i32 s0, s0, s3
	s_mul_i32 s2, s2, s34
	s_mul_hi_u32 s3, s23, s2
	s_mul_i32 s33, s23, s2
	s_mul_i32 s36, s34, s0
	s_mul_hi_u32 s2, s34, s2
	s_mul_hi_u32 s35, s34, s0
	s_add_u32 s2, s2, s36
	s_addc_u32 s35, 0, s35
	s_add_u32 s2, s2, s33
	s_mul_hi_u32 s1, s23, s0
	s_addc_u32 s2, s35, s3
	s_addc_u32 s1, s1, 0
	s_mul_i32 s0, s23, s0
	s_add_u32 s0, s2, s0
	s_addc_u32 s2, 0, s1
	s_add_u32 s3, s34, s0
	s_cselect_b64 s[0:1], -1, 0
	s_cmp_lg_u64 s[0:1], 0
	s_addc_u32 s2, s23, s2
	v_xor_b32_e32 v3, v9, v14
	v_mad_u64_u32 v[8:9], s[0:1], v13, s2, 0
	v_mul_hi_u32 v10, v13, s3
	v_lshl_add_u64 v[8:9], v[10:11], 0, v[8:9]
	v_mad_u64_u32 v[16:17], s[0:1], v3, s3, 0
	v_add_co_u32_e32 v8, vcc, v8, v16
	v_mad_u64_u32 v[10:11], s[0:1], v3, s2, 0
	s_nop 0
	v_addc_co_u32_e32 v8, vcc, v9, v17, vcc
	v_mov_b32_e32 v9, v2
	s_nop 0
	v_addc_co_u32_e32 v11, vcc, 0, v11, vcc
	v_lshl_add_u64 v[8:9], v[8:9], 0, v[10:11]
	v_mul_lo_u32 v10, s29, v8
	v_mul_lo_u32 v11, s28, v9
	v_mad_u64_u32 v[8:9], s[0:1], s28, v8, 0
	v_add3_u32 v9, v9, v11, v10
	v_sub_u32_e32 v10, v3, v9
	v_mov_b32_e32 v11, s29
	v_sub_co_u32_e32 v8, vcc, v13, v8
	s_nop 1
	v_subb_co_u32_e64 v10, s[0:1], v10, v11, vcc
	v_subrev_co_u32_e64 v13, s[0:1], s28, v8
	v_subb_co_u32_e32 v3, vcc, v3, v9, vcc
	s_nop 0
	v_subbrev_co_u32_e64 v15, s[2:3], 0, v10, s[0:1]
	v_cmp_le_u32_e64 s[2:3], s29, v15
	v_subb_co_u32_e64 v10, s[0:1], v10, v11, s[0:1]
	s_nop 0
	v_cndmask_b32_e64 v16, 0, -1, s[2:3]
	v_cmp_le_u32_e64 s[2:3], s28, v13
	v_subrev_co_u32_e64 v11, s[0:1], s28, v13
	s_nop 0
	v_cndmask_b32_e64 v17, 0, -1, s[2:3]
	v_cmp_eq_u32_e64 s[2:3], s29, v15
	v_subbrev_co_u32_e64 v10, s[0:1], 0, v10, s[0:1]
	s_nop 0
	v_cndmask_b32_e64 v16, v16, v17, s[2:3]
	v_cmp_le_u32_e32 vcc, s29, v3
	v_cmp_ne_u32_e64 s[0:1], 0, v16
	s_nop 0
	v_cndmask_b32_e64 v9, 0, -1, vcc
	v_cmp_le_u32_e32 vcc, s28, v8
	v_cndmask_b32_e64 v10, v15, v10, s[0:1]
	s_nop 0
	v_cndmask_b32_e64 v15, 0, -1, vcc
	v_cmp_eq_u32_e32 vcc, s29, v3
	s_nop 1
	v_cndmask_b32_e32 v9, v9, v15, vcc
	v_cmp_ne_u32_e32 vcc, 0, v9
	v_cndmask_b32_e64 v9, v13, v11, s[0:1]
	s_nop 0
	v_cndmask_b32_e32 v8, v8, v9, vcc
	v_cndmask_b32_e32 v3, v3, v10, vcc
	v_xor_b32_e32 v8, v8, v14
	v_xor_b32_e32 v3, v3, v14
	v_sub_co_u32_e32 v10, vcc, v8, v14
                                        ; implicit-def: $vgpr8_vgpr9
	s_nop 1
	v_subb_co_u32_e32 v11, vcc, v3, v14, vcc
.LBB38_11:                              ;   in Loop: Header=BB38_4 Depth=1
	s_andn2_saveexec_b64 s[0:1], s[26:27]
	s_cbranch_execz .LBB38_2
; %bb.12:                               ;   in Loop: Header=BB38_4 Depth=1
	v_cvt_f32_u32_e32 v3, s20
	s_sub_i32 s2, 0, s20
	v_mov_b32_e32 v11, v2
	v_rcp_iflag_f32_e32 v3, v3
	s_nop 0
	v_mul_f32_e32 v3, 0x4f7ffffe, v3
	v_cvt_u32_f32_e32 v3, v3
	v_mul_lo_u32 v9, s2, v3
	v_mul_hi_u32 v9, v3, v9
	v_add_u32_e32 v3, v3, v9
	v_mul_hi_u32 v3, v8, v3
	v_mul_lo_u32 v3, v3, s20
	v_sub_u32_e32 v3, v8, v3
	v_subrev_u32_e32 v8, s20, v3
	v_cmp_le_u32_e32 vcc, s20, v3
	s_nop 1
	v_cndmask_b32_e32 v3, v3, v8, vcc
	v_subrev_u32_e32 v8, s20, v3
	v_cmp_le_u32_e32 vcc, s20, v3
	s_nop 1
	v_cndmask_b32_e32 v10, v3, v8, vcc
	s_branch .LBB38_2
.LBB38_13:
	s_endpgm
	.section	.rodata,"a",@progbits
	.p2align	6, 0x0
	.amdhsa_kernel _ZN2at6native12_GLOBAL__N_121reflection_pad1d_flatIN3c107complexIdEEEEvPKT_PS6_lllll
		.amdhsa_group_segment_fixed_size 0
		.amdhsa_private_segment_fixed_size 0
		.amdhsa_kernarg_size 312
		.amdhsa_user_sgpr_count 2
		.amdhsa_user_sgpr_dispatch_ptr 0
		.amdhsa_user_sgpr_queue_ptr 0
		.amdhsa_user_sgpr_kernarg_segment_ptr 1
		.amdhsa_user_sgpr_dispatch_id 0
		.amdhsa_user_sgpr_kernarg_preload_length 0
		.amdhsa_user_sgpr_kernarg_preload_offset 0
		.amdhsa_user_sgpr_private_segment_size 0
		.amdhsa_uses_dynamic_stack 0
		.amdhsa_enable_private_segment 0
		.amdhsa_system_sgpr_workgroup_id_x 1
		.amdhsa_system_sgpr_workgroup_id_y 0
		.amdhsa_system_sgpr_workgroup_id_z 0
		.amdhsa_system_sgpr_workgroup_info 0
		.amdhsa_system_vgpr_workitem_id 0
		.amdhsa_next_free_vgpr 18
		.amdhsa_next_free_sgpr 38
		.amdhsa_accum_offset 20
		.amdhsa_reserve_vcc 1
		.amdhsa_float_round_mode_32 0
		.amdhsa_float_round_mode_16_64 0
		.amdhsa_float_denorm_mode_32 3
		.amdhsa_float_denorm_mode_16_64 3
		.amdhsa_dx10_clamp 1
		.amdhsa_ieee_mode 1
		.amdhsa_fp16_overflow 0
		.amdhsa_tg_split 0
		.amdhsa_exception_fp_ieee_invalid_op 0
		.amdhsa_exception_fp_denorm_src 0
		.amdhsa_exception_fp_ieee_div_zero 0
		.amdhsa_exception_fp_ieee_overflow 0
		.amdhsa_exception_fp_ieee_underflow 0
		.amdhsa_exception_fp_ieee_inexact 0
		.amdhsa_exception_int_div_zero 0
	.end_amdhsa_kernel
	.section	.text._ZN2at6native12_GLOBAL__N_121reflection_pad1d_flatIN3c107complexIdEEEEvPKT_PS6_lllll,"axG",@progbits,_ZN2at6native12_GLOBAL__N_121reflection_pad1d_flatIN3c107complexIdEEEEvPKT_PS6_lllll,comdat
.Lfunc_end38:
	.size	_ZN2at6native12_GLOBAL__N_121reflection_pad1d_flatIN3c107complexIdEEEEvPKT_PS6_lllll, .Lfunc_end38-_ZN2at6native12_GLOBAL__N_121reflection_pad1d_flatIN3c107complexIdEEEEvPKT_PS6_lllll
                                        ; -- End function
	.set _ZN2at6native12_GLOBAL__N_121reflection_pad1d_flatIN3c107complexIdEEEEvPKT_PS6_lllll.num_vgpr, 18
	.set _ZN2at6native12_GLOBAL__N_121reflection_pad1d_flatIN3c107complexIdEEEEvPKT_PS6_lllll.num_agpr, 0
	.set _ZN2at6native12_GLOBAL__N_121reflection_pad1d_flatIN3c107complexIdEEEEvPKT_PS6_lllll.numbered_sgpr, 38
	.set _ZN2at6native12_GLOBAL__N_121reflection_pad1d_flatIN3c107complexIdEEEEvPKT_PS6_lllll.num_named_barrier, 0
	.set _ZN2at6native12_GLOBAL__N_121reflection_pad1d_flatIN3c107complexIdEEEEvPKT_PS6_lllll.private_seg_size, 0
	.set _ZN2at6native12_GLOBAL__N_121reflection_pad1d_flatIN3c107complexIdEEEEvPKT_PS6_lllll.uses_vcc, 1
	.set _ZN2at6native12_GLOBAL__N_121reflection_pad1d_flatIN3c107complexIdEEEEvPKT_PS6_lllll.uses_flat_scratch, 0
	.set _ZN2at6native12_GLOBAL__N_121reflection_pad1d_flatIN3c107complexIdEEEEvPKT_PS6_lllll.has_dyn_sized_stack, 0
	.set _ZN2at6native12_GLOBAL__N_121reflection_pad1d_flatIN3c107complexIdEEEEvPKT_PS6_lllll.has_recursion, 0
	.set _ZN2at6native12_GLOBAL__N_121reflection_pad1d_flatIN3c107complexIdEEEEvPKT_PS6_lllll.has_indirect_call, 0
	.section	.AMDGPU.csdata,"",@progbits
; Kernel info:
; codeLenInByte = 1972
; TotalNumSgprs: 44
; NumVgprs: 18
; NumAgprs: 0
; TotalNumVgprs: 18
; ScratchSize: 0
; MemoryBound: 0
; FloatMode: 240
; IeeeMode: 1
; LDSByteSize: 0 bytes/workgroup (compile time only)
; SGPRBlocks: 5
; VGPRBlocks: 2
; NumSGPRsForWavesPerEU: 44
; NumVGPRsForWavesPerEU: 18
; AccumOffset: 20
; Occupancy: 8
; WaveLimiterHint : 0
; COMPUTE_PGM_RSRC2:SCRATCH_EN: 0
; COMPUTE_PGM_RSRC2:USER_SGPR: 2
; COMPUTE_PGM_RSRC2:TRAP_HANDLER: 0
; COMPUTE_PGM_RSRC2:TGID_X_EN: 1
; COMPUTE_PGM_RSRC2:TGID_Y_EN: 0
; COMPUTE_PGM_RSRC2:TGID_Z_EN: 0
; COMPUTE_PGM_RSRC2:TIDIG_COMP_CNT: 0
; COMPUTE_PGM_RSRC3_GFX90A:ACCUM_OFFSET: 4
; COMPUTE_PGM_RSRC3_GFX90A:TG_SPLIT: 0
	.section	.text._ZN2at6native12_GLOBAL__N_127reflection_pad1d_out_kernelIN3c107complexIfEEEEvPKT_PS6_lll,"axG",@progbits,_ZN2at6native12_GLOBAL__N_127reflection_pad1d_out_kernelIN3c107complexIfEEEEvPKT_PS6_lll,comdat
	.globl	_ZN2at6native12_GLOBAL__N_127reflection_pad1d_out_kernelIN3c107complexIfEEEEvPKT_PS6_lll ; -- Begin function _ZN2at6native12_GLOBAL__N_127reflection_pad1d_out_kernelIN3c107complexIfEEEEvPKT_PS6_lll
	.p2align	8
	.type	_ZN2at6native12_GLOBAL__N_127reflection_pad1d_out_kernelIN3c107complexIfEEEEvPKT_PS6_lll,@function
_ZN2at6native12_GLOBAL__N_127reflection_pad1d_out_kernelIN3c107complexIfEEEEvPKT_PS6_lll: ; @_ZN2at6native12_GLOBAL__N_127reflection_pad1d_out_kernelIN3c107complexIfEEEEvPKT_PS6_lll
; %bb.0:
	s_load_dword s5, s[0:1], 0x34
	s_load_dwordx2 s[16:17], s[0:1], 0x20
	s_load_dwordx8 s[8:15], s[0:1], 0x0
	s_add_u32 s6, s0, 40
	s_addc_u32 s7, s1, 0
	s_waitcnt lgkmcnt(0)
	s_and_b32 s0, s5, 0xffff
	v_mov_b32_e32 v1, 0
	v_mov_b32_e32 v2, s2
	s_add_u32 s2, s14, s12
	v_mad_u64_u32 v[0:1], s[0:1], s0, v2, v[0:1]
	s_addc_u32 s5, s15, s13
	s_add_u32 s0, s2, s16
	s_addc_u32 s1, s5, s17
	v_cmp_gt_i64_e32 vcc, s[0:1], v[0:1]
	s_and_saveexec_b64 s[16:17], vcc
	s_cbranch_execz .LBB39_2
; %bb.1:
	s_load_dword s16, s[6:7], 0x4
	s_sub_u32 s6, 0, s14
	v_mov_b32_e32 v4, s15
	v_subrev_co_u32_e32 v5, vcc, s14, v0
	s_waitcnt lgkmcnt(0)
	s_mul_i32 s4, s16, s4
	s_subb_u32 s7, 0, s15
	s_add_i32 s4, s4, s3
	v_subb_co_u32_e32 v4, vcc, v1, v4, vcc
	v_mov_b32_e32 v2, s8
	s_mul_i32 s3, s13, s4
	s_mul_hi_u32 s8, s12, s4
	v_ashrrev_i32_e32 v6, 31, v4
	v_mov_b32_e32 v3, s9
	s_add_i32 s9, s8, s3
	s_mul_i32 s1, s1, s4
	s_mul_hi_u32 s3, s0, s4
	v_xor_b32_e32 v7, v4, v6
	v_xor_b32_e32 v4, v5, v6
	s_mul_i32 s8, s12, s4
	s_add_i32 s1, s3, s1
	v_cmp_gt_i64_e64 s[12:13], s[6:7], 0
	v_sub_co_u32_e32 v4, vcc, v4, v6
	s_and_b64 s[12:13], s[12:13], exec
	s_nop 0
	v_subb_co_u32_e32 v5, vcc, v7, v6, vcc
	s_cselect_b32 s12, s7, 0
	s_cselect_b32 s13, s6, 0
	v_cmp_gt_i64_e64 s[6:7], s[14:15], 0
	v_mov_b32_e32 v7, s5
	v_subrev_co_u32_e32 v6, vcc, s2, v0
	s_and_b64 s[6:7], s[6:7], exec
	s_nop 0
	v_subb_co_u32_e32 v7, vcc, v1, v7, vcc
	s_cselect_b32 s7, s15, 0
	s_cselect_b32 s6, s14, 0
	v_lshl_add_u64 v[6:7], v[6:7], 0, 1
	s_add_u32 s14, s2, s14
	v_ashrrev_i32_e32 v8, 31, v7
	s_addc_u32 s5, s5, s15
	s_not_b64 s[2:3], s[6:7]
	v_xor_b32_e32 v6, v6, v8
	s_add_u32 s2, s14, s2
	v_xor_b32_e32 v7, v7, v8
	v_sub_co_u32_e32 v6, vcc, v6, v8
	s_addc_u32 s3, s5, s3
	s_nop 0
	v_subb_co_u32_e32 v7, vcc, v7, v8, vcc
	s_add_u32 s2, s2, s13
	v_lshl_add_u64 v[6:7], v[0:1], 0, v[6:7]
	s_addc_u32 s3, s3, s12
	v_mov_b32_e32 v8, s3
	v_sub_co_u32_e32 v6, vcc, s2, v6
	s_mul_i32 s0, s0, s4
	s_nop 0
	v_subb_co_u32_e32 v7, vcc, v8, v7, vcc
	v_lshl_add_u64 v[2:3], v[6:7], 3, v[2:3]
	v_lshl_add_u64 v[2:3], v[4:5], 3, v[2:3]
	;; [unrolled: 1-line block ×3, first 2 shown]
	global_load_dwordx2 v[2:3], v[2:3], off
	s_lshl_b64 s[0:1], s[0:1], 3
	s_add_u32 s0, s10, s0
	s_addc_u32 s1, s11, s1
	v_lshl_add_u64 v[0:1], v[0:1], 3, s[0:1]
	s_waitcnt vmcnt(0)
	global_store_dwordx2 v[0:1], v[2:3], off
.LBB39_2:
	s_endpgm
	.section	.rodata,"a",@progbits
	.p2align	6, 0x0
	.amdhsa_kernel _ZN2at6native12_GLOBAL__N_127reflection_pad1d_out_kernelIN3c107complexIfEEEEvPKT_PS6_lll
		.amdhsa_group_segment_fixed_size 0
		.amdhsa_private_segment_fixed_size 0
		.amdhsa_kernarg_size 296
		.amdhsa_user_sgpr_count 2
		.amdhsa_user_sgpr_dispatch_ptr 0
		.amdhsa_user_sgpr_queue_ptr 0
		.amdhsa_user_sgpr_kernarg_segment_ptr 1
		.amdhsa_user_sgpr_dispatch_id 0
		.amdhsa_user_sgpr_kernarg_preload_length 0
		.amdhsa_user_sgpr_kernarg_preload_offset 0
		.amdhsa_user_sgpr_private_segment_size 0
		.amdhsa_uses_dynamic_stack 0
		.amdhsa_enable_private_segment 0
		.amdhsa_system_sgpr_workgroup_id_x 1
		.amdhsa_system_sgpr_workgroup_id_y 1
		.amdhsa_system_sgpr_workgroup_id_z 1
		.amdhsa_system_sgpr_workgroup_info 0
		.amdhsa_system_vgpr_workitem_id 0
		.amdhsa_next_free_vgpr 9
		.amdhsa_next_free_sgpr 18
		.amdhsa_accum_offset 12
		.amdhsa_reserve_vcc 1
		.amdhsa_float_round_mode_32 0
		.amdhsa_float_round_mode_16_64 0
		.amdhsa_float_denorm_mode_32 3
		.amdhsa_float_denorm_mode_16_64 3
		.amdhsa_dx10_clamp 1
		.amdhsa_ieee_mode 1
		.amdhsa_fp16_overflow 0
		.amdhsa_tg_split 0
		.amdhsa_exception_fp_ieee_invalid_op 0
		.amdhsa_exception_fp_denorm_src 0
		.amdhsa_exception_fp_ieee_div_zero 0
		.amdhsa_exception_fp_ieee_overflow 0
		.amdhsa_exception_fp_ieee_underflow 0
		.amdhsa_exception_fp_ieee_inexact 0
		.amdhsa_exception_int_div_zero 0
	.end_amdhsa_kernel
	.section	.text._ZN2at6native12_GLOBAL__N_127reflection_pad1d_out_kernelIN3c107complexIfEEEEvPKT_PS6_lll,"axG",@progbits,_ZN2at6native12_GLOBAL__N_127reflection_pad1d_out_kernelIN3c107complexIfEEEEvPKT_PS6_lll,comdat
.Lfunc_end39:
	.size	_ZN2at6native12_GLOBAL__N_127reflection_pad1d_out_kernelIN3c107complexIfEEEEvPKT_PS6_lll, .Lfunc_end39-_ZN2at6native12_GLOBAL__N_127reflection_pad1d_out_kernelIN3c107complexIfEEEEvPKT_PS6_lll
                                        ; -- End function
	.set _ZN2at6native12_GLOBAL__N_127reflection_pad1d_out_kernelIN3c107complexIfEEEEvPKT_PS6_lll.num_vgpr, 9
	.set _ZN2at6native12_GLOBAL__N_127reflection_pad1d_out_kernelIN3c107complexIfEEEEvPKT_PS6_lll.num_agpr, 0
	.set _ZN2at6native12_GLOBAL__N_127reflection_pad1d_out_kernelIN3c107complexIfEEEEvPKT_PS6_lll.numbered_sgpr, 18
	.set _ZN2at6native12_GLOBAL__N_127reflection_pad1d_out_kernelIN3c107complexIfEEEEvPKT_PS6_lll.num_named_barrier, 0
	.set _ZN2at6native12_GLOBAL__N_127reflection_pad1d_out_kernelIN3c107complexIfEEEEvPKT_PS6_lll.private_seg_size, 0
	.set _ZN2at6native12_GLOBAL__N_127reflection_pad1d_out_kernelIN3c107complexIfEEEEvPKT_PS6_lll.uses_vcc, 1
	.set _ZN2at6native12_GLOBAL__N_127reflection_pad1d_out_kernelIN3c107complexIfEEEEvPKT_PS6_lll.uses_flat_scratch, 0
	.set _ZN2at6native12_GLOBAL__N_127reflection_pad1d_out_kernelIN3c107complexIfEEEEvPKT_PS6_lll.has_dyn_sized_stack, 0
	.set _ZN2at6native12_GLOBAL__N_127reflection_pad1d_out_kernelIN3c107complexIfEEEEvPKT_PS6_lll.has_recursion, 0
	.set _ZN2at6native12_GLOBAL__N_127reflection_pad1d_out_kernelIN3c107complexIfEEEEvPKT_PS6_lll.has_indirect_call, 0
	.section	.AMDGPU.csdata,"",@progbits
; Kernel info:
; codeLenInByte = 400
; TotalNumSgprs: 24
; NumVgprs: 9
; NumAgprs: 0
; TotalNumVgprs: 9
; ScratchSize: 0
; MemoryBound: 0
; FloatMode: 240
; IeeeMode: 1
; LDSByteSize: 0 bytes/workgroup (compile time only)
; SGPRBlocks: 2
; VGPRBlocks: 1
; NumSGPRsForWavesPerEU: 24
; NumVGPRsForWavesPerEU: 9
; AccumOffset: 12
; Occupancy: 8
; WaveLimiterHint : 0
; COMPUTE_PGM_RSRC2:SCRATCH_EN: 0
; COMPUTE_PGM_RSRC2:USER_SGPR: 2
; COMPUTE_PGM_RSRC2:TRAP_HANDLER: 0
; COMPUTE_PGM_RSRC2:TGID_X_EN: 1
; COMPUTE_PGM_RSRC2:TGID_Y_EN: 1
; COMPUTE_PGM_RSRC2:TGID_Z_EN: 1
; COMPUTE_PGM_RSRC2:TIDIG_COMP_CNT: 0
; COMPUTE_PGM_RSRC3_GFX90A:ACCUM_OFFSET: 2
; COMPUTE_PGM_RSRC3_GFX90A:TG_SPLIT: 0
	.section	.text._ZN2at6native12_GLOBAL__N_121reflection_pad1d_flatIN3c107complexIfEEEEvPKT_PS6_lllll,"axG",@progbits,_ZN2at6native12_GLOBAL__N_121reflection_pad1d_flatIN3c107complexIfEEEEvPKT_PS6_lllll,comdat
	.globl	_ZN2at6native12_GLOBAL__N_121reflection_pad1d_flatIN3c107complexIfEEEEvPKT_PS6_lllll ; -- Begin function _ZN2at6native12_GLOBAL__N_121reflection_pad1d_flatIN3c107complexIfEEEEvPKT_PS6_lllll
	.p2align	8
	.type	_ZN2at6native12_GLOBAL__N_121reflection_pad1d_flatIN3c107complexIfEEEEvPKT_PS6_lllll,@function
_ZN2at6native12_GLOBAL__N_121reflection_pad1d_flatIN3c107complexIfEEEEvPKT_PS6_lllll: ; @_ZN2at6native12_GLOBAL__N_121reflection_pad1d_flatIN3c107complexIfEEEEvPKT_PS6_lllll
; %bb.0:
	s_load_dword s3, s[0:1], 0x44
	s_load_dwordx4 s[12:15], s[0:1], 0x28
	s_add_u32 s16, s0, 56
	v_mov_b32_e32 v2, 0
	s_addc_u32 s17, s1, 0
	s_waitcnt lgkmcnt(0)
	s_and_b32 s3, s3, 0xffff
	s_mul_i32 s4, s14, s13
	s_mul_hi_u32 s5, s14, s12
	v_mov_b32_e32 v1, v2
	s_add_i32 s4, s5, s4
	s_mul_i32 s5, s15, s12
	v_mov_b32_e32 v3, s2
	s_add_i32 s15, s4, s5
	s_mul_i32 s14, s14, s12
	v_mad_u64_u32 v[0:1], s[4:5], s3, v3, v[0:1]
	v_cmp_gt_i64_e32 vcc, s[14:15], v[0:1]
	s_and_saveexec_b64 s[4:5], vcc
	s_cbranch_execz .LBB40_13
; %bb.1:
	v_cvt_f32_u32_e32 v3, s12
	s_load_dword s2, s[16:17], 0x0
	s_load_dwordx8 s[4:11], s[0:1], 0x0
	s_mov_b64 s[16:17], 0
	v_rcp_iflag_f32_e32 v3, v3
	s_waitcnt lgkmcnt(0)
	s_mul_hi_u32 s19, s3, s2
	s_lshl_b64 s[0:1], s[8:9], 1
	s_add_u32 s20, s0, -2
	s_addc_u32 s21, s1, -1
	v_mul_f32_e32 v3, 0x4f7ffffe, v3
	s_sub_u32 s30, 0, s12
	v_cvt_u32_f32_e32 v12, v3
	s_subb_u32 s31, 0, s13
	s_mul_i32 s18, s3, s2
	s_sub_u32 s10, 0, s10
	s_subb_u32 s11, 0, s11
	v_lshl_add_u64 v[4:5], v[0:1], 3, s[6:7]
	s_lshl_b64 s[6:7], s[18:19], 3
	s_ashr_i32 s22, s13, 31
	v_cmp_gt_i64_e64 s[24:25], s[20:21], 0
	s_branch .LBB40_4
.LBB40_2:                               ;   in Loop: Header=BB40_4 Depth=1
	s_or_b64 exec, exec, s[0:1]
	v_ashrrev_i32_e32 v3, 31, v11
	v_and_b32_e32 v9, s21, v3
	v_and_b32_e32 v8, s20, v3
	v_lshl_add_u64 v[8:9], v[8:9], 0, v[10:11]
	v_mov_b32_e32 v3, s21
	v_sub_co_u32_e32 v10, vcc, s20, v8
	s_nop 1
	v_subb_co_u32_e32 v3, vcc, v3, v9, vcc
	v_cmp_gt_i64_e32 vcc, s[8:9], v[8:9]
	s_nop 1
	v_cndmask_b32_e32 v9, v3, v9, vcc
	v_cndmask_b32_e32 v8, v10, v8, vcc
.LBB40_3:                               ;   in Loop: Header=BB40_4 Depth=1
	v_mul_lo_u32 v3, v7, s8
	v_mul_lo_u32 v10, v6, s9
	v_mad_u64_u32 v[6:7], s[0:1], v6, s8, 0
	v_add3_u32 v7, v7, v10, v3
	v_lshl_add_u64 v[6:7], v[6:7], 3, s[4:5]
	v_lshl_add_u64 v[6:7], v[8:9], 3, v[6:7]
	global_load_dwordx2 v[6:7], v[6:7], off
	v_lshl_add_u64 v[0:1], v[0:1], 0, s[18:19]
	v_cmp_le_i64_e32 vcc, s[14:15], v[0:1]
	s_or_b64 s[16:17], vcc, s[16:17]
	s_waitcnt vmcnt(0)
	global_store_dwordx2 v[4:5], v[6:7], off
	v_lshl_add_u64 v[4:5], v[4:5], 0, s[6:7]
	s_andn2_b64 exec, exec, s[16:17]
	s_cbranch_execz .LBB40_13
.LBB40_4:                               ; =>This Inner Loop Header: Depth=1
	v_or_b32_e32 v3, s13, v1
	v_cmp_ne_u64_e32 vcc, 0, v[2:3]
                                        ; implicit-def: $vgpr6_vgpr7
	s_and_saveexec_b64 s[0:1], vcc
	s_xor_b64 s[2:3], exec, s[0:1]
	s_cbranch_execnz .LBB40_7
; %bb.5:                                ;   in Loop: Header=BB40_4 Depth=1
	s_andn2_saveexec_b64 s[0:1], s[2:3]
	s_cbranch_execnz .LBB40_8
.LBB40_6:                               ;   in Loop: Header=BB40_4 Depth=1
	s_or_b64 exec, exec, s[0:1]
	s_andn2_b64 vcc, exec, s[24:25]
	v_mov_b64_e32 v[8:9], 0
	s_cbranch_vccnz .LBB40_3
	s_branch .LBB40_9
.LBB40_7:                               ;   in Loop: Header=BB40_4 Depth=1
	s_add_u32 s0, s12, s22
	s_mov_b32 s23, s22
	s_addc_u32 s1, s13, s22
	s_xor_b64 s[26:27], s[0:1], s[22:23]
	v_cvt_f32_u32_e32 v3, s26
	v_cvt_f32_u32_e32 v6, s27
	s_sub_u32 s23, 0, s26
	s_subb_u32 s28, 0, s27
	v_mov_b32_e32 v11, v2
	v_fmac_f32_e32 v3, 0x4f800000, v6
	v_rcp_f32_e32 v3, v3
	s_nop 0
	v_mul_f32_e32 v3, 0x5f7ffffc, v3
	v_mul_f32_e32 v6, 0x2f800000, v3
	v_trunc_f32_e32 v6, v6
	v_fmac_f32_e32 v3, 0xcf800000, v6
	v_cvt_u32_f32_e32 v6, v6
	v_cvt_u32_f32_e32 v3, v3
	v_readfirstlane_b32 s29, v6
	v_readfirstlane_b32 s0, v3
	s_mul_i32 s1, s23, s29
	s_mul_hi_u32 s34, s23, s0
	s_mul_i32 s33, s28, s0
	s_add_i32 s1, s34, s1
	s_add_i32 s1, s1, s33
	s_mul_i32 s35, s23, s0
	s_mul_i32 s34, s0, s1
	s_mul_hi_u32 s36, s0, s35
	s_mul_hi_u32 s33, s0, s1
	s_add_u32 s34, s36, s34
	s_addc_u32 s33, 0, s33
	s_mul_hi_u32 s37, s29, s35
	s_mul_i32 s35, s29, s35
	s_add_u32 s34, s34, s35
	s_mul_hi_u32 s36, s29, s1
	s_addc_u32 s33, s33, s37
	s_addc_u32 s34, s36, 0
	s_mul_i32 s1, s29, s1
	s_add_u32 s1, s33, s1
	s_addc_u32 s33, 0, s34
	s_add_u32 s34, s0, s1
	s_cselect_b64 s[0:1], -1, 0
	s_cmp_lg_u64 s[0:1], 0
	s_addc_u32 s29, s29, s33
	s_mul_i32 s0, s23, s29
	s_mul_hi_u32 s1, s23, s34
	s_add_i32 s0, s1, s0
	s_mul_i32 s28, s28, s34
	s_add_i32 s0, s0, s28
	s_mul_i32 s23, s23, s34
	s_mul_hi_u32 s28, s29, s23
	s_mul_i32 s33, s29, s23
	s_mul_i32 s36, s34, s0
	s_mul_hi_u32 s23, s34, s23
	s_mul_hi_u32 s35, s34, s0
	s_add_u32 s23, s23, s36
	s_addc_u32 s35, 0, s35
	s_add_u32 s23, s23, s33
	s_mul_hi_u32 s1, s29, s0
	s_addc_u32 s23, s35, s28
	s_addc_u32 s1, s1, 0
	s_mul_i32 s0, s29, s0
	s_add_u32 s0, s23, s0
	s_addc_u32 s23, 0, s1
	s_add_u32 s28, s34, s0
	v_ashrrev_i32_e32 v6, 31, v1
	s_cselect_b64 s[0:1], -1, 0
	v_mov_b32_e32 v7, v6
	s_cmp_lg_u64 s[0:1], 0
	v_lshl_add_u64 v[8:9], v[0:1], 0, v[6:7]
	s_addc_u32 s23, s29, s23
	v_xor_b32_e32 v7, v8, v6
	v_xor_b32_e32 v3, v9, v6
	v_mad_u64_u32 v[8:9], s[0:1], v7, s23, 0
	v_mul_hi_u32 v10, v7, s28
	v_lshl_add_u64 v[8:9], v[10:11], 0, v[8:9]
	v_mad_u64_u32 v[14:15], s[0:1], v3, s28, 0
	v_add_co_u32_e32 v8, vcc, v8, v14
	v_mad_u64_u32 v[10:11], s[0:1], v3, s23, 0
	s_nop 0
	v_addc_co_u32_e32 v8, vcc, v9, v15, vcc
	v_mov_b32_e32 v9, v2
	s_nop 0
	v_addc_co_u32_e32 v11, vcc, 0, v11, vcc
	v_lshl_add_u64 v[8:9], v[8:9], 0, v[10:11]
	v_mul_lo_u32 v13, s27, v8
	v_mul_lo_u32 v14, s26, v9
	v_mad_u64_u32 v[10:11], s[0:1], s26, v8, 0
	v_add3_u32 v13, v11, v14, v13
	v_sub_u32_e32 v11, v3, v13
	v_mov_b32_e32 v14, s27
	v_sub_co_u32_e32 v7, vcc, v7, v10
	s_nop 1
	v_subb_co_u32_e64 v10, s[0:1], v11, v14, vcc
	v_subrev_co_u32_e64 v11, s[0:1], s26, v7
	v_subb_co_u32_e32 v3, vcc, v3, v13, vcc
	s_nop 0
	v_subbrev_co_u32_e64 v10, s[0:1], 0, v10, s[0:1]
	v_cmp_le_u32_e64 s[0:1], s27, v10
	v_cmp_le_u32_e32 vcc, s27, v3
	s_nop 0
	v_cndmask_b32_e64 v14, 0, -1, s[0:1]
	v_cmp_le_u32_e64 s[0:1], s26, v11
	v_cndmask_b32_e64 v13, 0, -1, vcc
	v_cmp_le_u32_e32 vcc, s26, v7
	v_cndmask_b32_e64 v11, 0, -1, s[0:1]
	v_cmp_eq_u32_e64 s[0:1], s27, v10
	v_cndmask_b32_e64 v7, 0, -1, vcc
	v_cmp_eq_u32_e32 vcc, s27, v3
	v_cndmask_b32_e64 v16, v14, v11, s[0:1]
	v_lshl_add_u64 v[10:11], v[8:9], 0, 2
	v_lshl_add_u64 v[14:15], v[8:9], 0, 1
	v_cmp_ne_u32_e64 s[0:1], 0, v16
	v_cndmask_b32_e32 v3, v13, v7, vcc
	v_cmp_ne_u32_e32 vcc, 0, v3
	v_cndmask_b32_e64 v7, v14, v10, s[0:1]
	v_cndmask_b32_e64 v11, v15, v11, s[0:1]
	v_cndmask_b32_e32 v7, v8, v7, vcc
	v_xor_b32_e32 v8, s22, v6
	v_cndmask_b32_e32 v3, v9, v11, vcc
	v_xor_b32_e32 v6, v7, v8
	v_xor_b32_e32 v3, v3, v8
	v_sub_co_u32_e32 v6, vcc, v6, v8
	s_nop 1
	v_subb_co_u32_e32 v7, vcc, v3, v8, vcc
	s_andn2_saveexec_b64 s[0:1], s[2:3]
	s_cbranch_execz .LBB40_6
.LBB40_8:                               ;   in Loop: Header=BB40_4 Depth=1
	s_sub_i32 s2, 0, s12
	v_mul_lo_u32 v3, s2, v12
	v_mul_hi_u32 v3, v12, v3
	v_add_u32_e32 v3, v12, v3
	v_mul_hi_u32 v3, v0, v3
	v_mul_lo_u32 v6, v3, s12
	v_sub_u32_e32 v6, v0, v6
	v_subrev_u32_e32 v7, s12, v6
	v_cmp_le_u32_e32 vcc, s12, v6
	s_nop 1
	v_cndmask_b32_e32 v6, v6, v7, vcc
	v_add_u32_e32 v7, 1, v3
	v_cndmask_b32_e32 v3, v3, v7, vcc
	v_add_u32_e32 v7, 1, v3
	v_cmp_le_u32_e32 vcc, s12, v6
	s_nop 1
	v_cndmask_b32_e32 v6, v3, v7, vcc
	v_mov_b32_e32 v7, v2
	s_or_b64 exec, exec, s[0:1]
	s_andn2_b64 vcc, exec, s[24:25]
	v_mov_b64_e32 v[8:9], 0
	s_cbranch_vccnz .LBB40_3
.LBB40_9:                               ;   in Loop: Header=BB40_4 Depth=1
	v_lshl_add_u64 v[8:9], s[10:11], 0, v[0:1]
	v_mul_lo_u32 v3, s30, v7
	v_mul_lo_u32 v10, s31, v6
	v_mad_u64_u32 v[8:9], s[0:1], s30, v6, v[8:9]
	v_add3_u32 v9, v10, v9, v3
	v_or_b32_e32 v3, s21, v9
	v_cmp_ne_u64_e32 vcc, 0, v[2:3]
                                        ; implicit-def: $vgpr10_vgpr11
	s_and_saveexec_b64 s[0:1], vcc
	s_xor_b64 s[26:27], exec, s[0:1]
	s_cbranch_execz .LBB40_11
; %bb.10:                               ;   in Loop: Header=BB40_4 Depth=1
	s_ashr_i32 s0, s21, 31
	s_add_u32 s2, s20, s0
	s_mov_b32 s1, s0
	s_addc_u32 s3, s21, s0
	s_xor_b64 s[28:29], s[2:3], s[0:1]
	v_cvt_f32_u32_e32 v3, s28
	v_cvt_f32_u32_e32 v10, s29
	s_sub_u32 s2, 0, s28
	s_subb_u32 s3, 0, s29
	v_ashrrev_i32_e32 v14, 31, v9
	v_fmac_f32_e32 v3, 0x4f800000, v10
	v_rcp_f32_e32 v3, v3
	v_mov_b32_e32 v15, v14
	v_lshl_add_u64 v[8:9], v[8:9], 0, v[14:15]
	v_xor_b32_e32 v13, v8, v14
	v_mul_f32_e32 v3, 0x5f7ffffc, v3
	v_mul_f32_e32 v10, 0x2f800000, v3
	v_trunc_f32_e32 v10, v10
	v_fmac_f32_e32 v3, 0xcf800000, v10
	v_cvt_u32_f32_e32 v10, v10
	v_cvt_u32_f32_e32 v3, v3
	v_mov_b32_e32 v11, v2
	v_readfirstlane_b32 s23, v10
	v_readfirstlane_b32 s0, v3
	s_mul_i32 s1, s2, s23
	s_mul_hi_u32 s34, s2, s0
	s_mul_i32 s33, s3, s0
	s_add_i32 s1, s34, s1
	s_add_i32 s1, s1, s33
	s_mul_i32 s35, s2, s0
	s_mul_i32 s34, s0, s1
	s_mul_hi_u32 s36, s0, s35
	s_mul_hi_u32 s33, s0, s1
	s_add_u32 s34, s36, s34
	s_addc_u32 s33, 0, s33
	s_mul_hi_u32 s37, s23, s35
	s_mul_i32 s35, s23, s35
	s_add_u32 s34, s34, s35
	s_mul_hi_u32 s36, s23, s1
	s_addc_u32 s33, s33, s37
	s_addc_u32 s34, s36, 0
	s_mul_i32 s1, s23, s1
	s_add_u32 s1, s33, s1
	s_addc_u32 s33, 0, s34
	s_add_u32 s34, s0, s1
	s_cselect_b64 s[0:1], -1, 0
	s_cmp_lg_u64 s[0:1], 0
	s_addc_u32 s23, s23, s33
	s_mul_i32 s0, s2, s23
	s_mul_hi_u32 s1, s2, s34
	s_add_i32 s0, s1, s0
	s_mul_i32 s3, s3, s34
	s_add_i32 s0, s0, s3
	s_mul_i32 s2, s2, s34
	s_mul_hi_u32 s3, s23, s2
	s_mul_i32 s33, s23, s2
	s_mul_i32 s36, s34, s0
	s_mul_hi_u32 s2, s34, s2
	s_mul_hi_u32 s35, s34, s0
	s_add_u32 s2, s2, s36
	s_addc_u32 s35, 0, s35
	s_add_u32 s2, s2, s33
	s_mul_hi_u32 s1, s23, s0
	s_addc_u32 s2, s35, s3
	s_addc_u32 s1, s1, 0
	s_mul_i32 s0, s23, s0
	s_add_u32 s0, s2, s0
	s_addc_u32 s2, 0, s1
	s_add_u32 s3, s34, s0
	s_cselect_b64 s[0:1], -1, 0
	s_cmp_lg_u64 s[0:1], 0
	s_addc_u32 s2, s23, s2
	v_xor_b32_e32 v3, v9, v14
	v_mad_u64_u32 v[8:9], s[0:1], v13, s2, 0
	v_mul_hi_u32 v10, v13, s3
	v_lshl_add_u64 v[8:9], v[10:11], 0, v[8:9]
	v_mad_u64_u32 v[16:17], s[0:1], v3, s3, 0
	v_add_co_u32_e32 v8, vcc, v8, v16
	v_mad_u64_u32 v[10:11], s[0:1], v3, s2, 0
	s_nop 0
	v_addc_co_u32_e32 v8, vcc, v9, v17, vcc
	v_mov_b32_e32 v9, v2
	s_nop 0
	v_addc_co_u32_e32 v11, vcc, 0, v11, vcc
	v_lshl_add_u64 v[8:9], v[8:9], 0, v[10:11]
	v_mul_lo_u32 v10, s29, v8
	v_mul_lo_u32 v11, s28, v9
	v_mad_u64_u32 v[8:9], s[0:1], s28, v8, 0
	v_add3_u32 v9, v9, v11, v10
	v_sub_u32_e32 v10, v3, v9
	v_mov_b32_e32 v11, s29
	v_sub_co_u32_e32 v8, vcc, v13, v8
	s_nop 1
	v_subb_co_u32_e64 v10, s[0:1], v10, v11, vcc
	v_subrev_co_u32_e64 v13, s[0:1], s28, v8
	v_subb_co_u32_e32 v3, vcc, v3, v9, vcc
	s_nop 0
	v_subbrev_co_u32_e64 v15, s[2:3], 0, v10, s[0:1]
	v_cmp_le_u32_e64 s[2:3], s29, v15
	v_subb_co_u32_e64 v10, s[0:1], v10, v11, s[0:1]
	s_nop 0
	v_cndmask_b32_e64 v16, 0, -1, s[2:3]
	v_cmp_le_u32_e64 s[2:3], s28, v13
	v_subrev_co_u32_e64 v11, s[0:1], s28, v13
	s_nop 0
	v_cndmask_b32_e64 v17, 0, -1, s[2:3]
	v_cmp_eq_u32_e64 s[2:3], s29, v15
	v_subbrev_co_u32_e64 v10, s[0:1], 0, v10, s[0:1]
	s_nop 0
	v_cndmask_b32_e64 v16, v16, v17, s[2:3]
	v_cmp_le_u32_e32 vcc, s29, v3
	v_cmp_ne_u32_e64 s[0:1], 0, v16
	s_nop 0
	v_cndmask_b32_e64 v9, 0, -1, vcc
	v_cmp_le_u32_e32 vcc, s28, v8
	v_cndmask_b32_e64 v10, v15, v10, s[0:1]
	s_nop 0
	v_cndmask_b32_e64 v15, 0, -1, vcc
	v_cmp_eq_u32_e32 vcc, s29, v3
	s_nop 1
	v_cndmask_b32_e32 v9, v9, v15, vcc
	v_cmp_ne_u32_e32 vcc, 0, v9
	v_cndmask_b32_e64 v9, v13, v11, s[0:1]
	s_nop 0
	v_cndmask_b32_e32 v8, v8, v9, vcc
	v_cndmask_b32_e32 v3, v3, v10, vcc
	v_xor_b32_e32 v8, v8, v14
	v_xor_b32_e32 v3, v3, v14
	v_sub_co_u32_e32 v10, vcc, v8, v14
                                        ; implicit-def: $vgpr8_vgpr9
	s_nop 1
	v_subb_co_u32_e32 v11, vcc, v3, v14, vcc
.LBB40_11:                              ;   in Loop: Header=BB40_4 Depth=1
	s_andn2_saveexec_b64 s[0:1], s[26:27]
	s_cbranch_execz .LBB40_2
; %bb.12:                               ;   in Loop: Header=BB40_4 Depth=1
	v_cvt_f32_u32_e32 v3, s20
	s_sub_i32 s2, 0, s20
	v_mov_b32_e32 v11, v2
	v_rcp_iflag_f32_e32 v3, v3
	s_nop 0
	v_mul_f32_e32 v3, 0x4f7ffffe, v3
	v_cvt_u32_f32_e32 v3, v3
	v_mul_lo_u32 v9, s2, v3
	v_mul_hi_u32 v9, v3, v9
	v_add_u32_e32 v3, v3, v9
	v_mul_hi_u32 v3, v8, v3
	v_mul_lo_u32 v3, v3, s20
	v_sub_u32_e32 v3, v8, v3
	v_subrev_u32_e32 v8, s20, v3
	v_cmp_le_u32_e32 vcc, s20, v3
	s_nop 1
	v_cndmask_b32_e32 v3, v3, v8, vcc
	v_subrev_u32_e32 v8, s20, v3
	v_cmp_le_u32_e32 vcc, s20, v3
	s_nop 1
	v_cndmask_b32_e32 v10, v3, v8, vcc
	s_branch .LBB40_2
.LBB40_13:
	s_endpgm
	.section	.rodata,"a",@progbits
	.p2align	6, 0x0
	.amdhsa_kernel _ZN2at6native12_GLOBAL__N_121reflection_pad1d_flatIN3c107complexIfEEEEvPKT_PS6_lllll
		.amdhsa_group_segment_fixed_size 0
		.amdhsa_private_segment_fixed_size 0
		.amdhsa_kernarg_size 312
		.amdhsa_user_sgpr_count 2
		.amdhsa_user_sgpr_dispatch_ptr 0
		.amdhsa_user_sgpr_queue_ptr 0
		.amdhsa_user_sgpr_kernarg_segment_ptr 1
		.amdhsa_user_sgpr_dispatch_id 0
		.amdhsa_user_sgpr_kernarg_preload_length 0
		.amdhsa_user_sgpr_kernarg_preload_offset 0
		.amdhsa_user_sgpr_private_segment_size 0
		.amdhsa_uses_dynamic_stack 0
		.amdhsa_enable_private_segment 0
		.amdhsa_system_sgpr_workgroup_id_x 1
		.amdhsa_system_sgpr_workgroup_id_y 0
		.amdhsa_system_sgpr_workgroup_id_z 0
		.amdhsa_system_sgpr_workgroup_info 0
		.amdhsa_system_vgpr_workitem_id 0
		.amdhsa_next_free_vgpr 18
		.amdhsa_next_free_sgpr 38
		.amdhsa_accum_offset 20
		.amdhsa_reserve_vcc 1
		.amdhsa_float_round_mode_32 0
		.amdhsa_float_round_mode_16_64 0
		.amdhsa_float_denorm_mode_32 3
		.amdhsa_float_denorm_mode_16_64 3
		.amdhsa_dx10_clamp 1
		.amdhsa_ieee_mode 1
		.amdhsa_fp16_overflow 0
		.amdhsa_tg_split 0
		.amdhsa_exception_fp_ieee_invalid_op 0
		.amdhsa_exception_fp_denorm_src 0
		.amdhsa_exception_fp_ieee_div_zero 0
		.amdhsa_exception_fp_ieee_overflow 0
		.amdhsa_exception_fp_ieee_underflow 0
		.amdhsa_exception_fp_ieee_inexact 0
		.amdhsa_exception_int_div_zero 0
	.end_amdhsa_kernel
	.section	.text._ZN2at6native12_GLOBAL__N_121reflection_pad1d_flatIN3c107complexIfEEEEvPKT_PS6_lllll,"axG",@progbits,_ZN2at6native12_GLOBAL__N_121reflection_pad1d_flatIN3c107complexIfEEEEvPKT_PS6_lllll,comdat
.Lfunc_end40:
	.size	_ZN2at6native12_GLOBAL__N_121reflection_pad1d_flatIN3c107complexIfEEEEvPKT_PS6_lllll, .Lfunc_end40-_ZN2at6native12_GLOBAL__N_121reflection_pad1d_flatIN3c107complexIfEEEEvPKT_PS6_lllll
                                        ; -- End function
	.set _ZN2at6native12_GLOBAL__N_121reflection_pad1d_flatIN3c107complexIfEEEEvPKT_PS6_lllll.num_vgpr, 18
	.set _ZN2at6native12_GLOBAL__N_121reflection_pad1d_flatIN3c107complexIfEEEEvPKT_PS6_lllll.num_agpr, 0
	.set _ZN2at6native12_GLOBAL__N_121reflection_pad1d_flatIN3c107complexIfEEEEvPKT_PS6_lllll.numbered_sgpr, 38
	.set _ZN2at6native12_GLOBAL__N_121reflection_pad1d_flatIN3c107complexIfEEEEvPKT_PS6_lllll.num_named_barrier, 0
	.set _ZN2at6native12_GLOBAL__N_121reflection_pad1d_flatIN3c107complexIfEEEEvPKT_PS6_lllll.private_seg_size, 0
	.set _ZN2at6native12_GLOBAL__N_121reflection_pad1d_flatIN3c107complexIfEEEEvPKT_PS6_lllll.uses_vcc, 1
	.set _ZN2at6native12_GLOBAL__N_121reflection_pad1d_flatIN3c107complexIfEEEEvPKT_PS6_lllll.uses_flat_scratch, 0
	.set _ZN2at6native12_GLOBAL__N_121reflection_pad1d_flatIN3c107complexIfEEEEvPKT_PS6_lllll.has_dyn_sized_stack, 0
	.set _ZN2at6native12_GLOBAL__N_121reflection_pad1d_flatIN3c107complexIfEEEEvPKT_PS6_lllll.has_recursion, 0
	.set _ZN2at6native12_GLOBAL__N_121reflection_pad1d_flatIN3c107complexIfEEEEvPKT_PS6_lllll.has_indirect_call, 0
	.section	.AMDGPU.csdata,"",@progbits
; Kernel info:
; codeLenInByte = 1972
; TotalNumSgprs: 44
; NumVgprs: 18
; NumAgprs: 0
; TotalNumVgprs: 18
; ScratchSize: 0
; MemoryBound: 0
; FloatMode: 240
; IeeeMode: 1
; LDSByteSize: 0 bytes/workgroup (compile time only)
; SGPRBlocks: 5
; VGPRBlocks: 2
; NumSGPRsForWavesPerEU: 44
; NumVGPRsForWavesPerEU: 18
; AccumOffset: 20
; Occupancy: 8
; WaveLimiterHint : 0
; COMPUTE_PGM_RSRC2:SCRATCH_EN: 0
; COMPUTE_PGM_RSRC2:USER_SGPR: 2
; COMPUTE_PGM_RSRC2:TRAP_HANDLER: 0
; COMPUTE_PGM_RSRC2:TGID_X_EN: 1
; COMPUTE_PGM_RSRC2:TGID_Y_EN: 0
; COMPUTE_PGM_RSRC2:TGID_Z_EN: 0
; COMPUTE_PGM_RSRC2:TIDIG_COMP_CNT: 0
; COMPUTE_PGM_RSRC3_GFX90A:ACCUM_OFFSET: 4
; COMPUTE_PGM_RSRC3_GFX90A:TG_SPLIT: 0
	.section	.text._ZN2at6native12_GLOBAL__N_127reflection_pad1d_out_kernelIN3c104HalfEEEvPKT_PS5_lll,"axG",@progbits,_ZN2at6native12_GLOBAL__N_127reflection_pad1d_out_kernelIN3c104HalfEEEvPKT_PS5_lll,comdat
	.globl	_ZN2at6native12_GLOBAL__N_127reflection_pad1d_out_kernelIN3c104HalfEEEvPKT_PS5_lll ; -- Begin function _ZN2at6native12_GLOBAL__N_127reflection_pad1d_out_kernelIN3c104HalfEEEvPKT_PS5_lll
	.p2align	8
	.type	_ZN2at6native12_GLOBAL__N_127reflection_pad1d_out_kernelIN3c104HalfEEEvPKT_PS5_lll,@function
_ZN2at6native12_GLOBAL__N_127reflection_pad1d_out_kernelIN3c104HalfEEEvPKT_PS5_lll: ; @_ZN2at6native12_GLOBAL__N_127reflection_pad1d_out_kernelIN3c104HalfEEEvPKT_PS5_lll
; %bb.0:
	s_load_dword s5, s[0:1], 0x34
	s_load_dwordx2 s[16:17], s[0:1], 0x20
	s_load_dwordx8 s[8:15], s[0:1], 0x0
	s_add_u32 s6, s0, 40
	s_addc_u32 s7, s1, 0
	s_waitcnt lgkmcnt(0)
	s_and_b32 s0, s5, 0xffff
	v_mov_b32_e32 v1, 0
	v_mov_b32_e32 v2, s2
	s_add_u32 s2, s14, s12
	v_mad_u64_u32 v[0:1], s[0:1], s0, v2, v[0:1]
	s_addc_u32 s5, s15, s13
	s_add_u32 s0, s2, s16
	s_addc_u32 s1, s5, s17
	v_cmp_gt_i64_e32 vcc, s[0:1], v[0:1]
	s_and_saveexec_b64 s[16:17], vcc
	s_cbranch_execz .LBB41_2
; %bb.1:
	s_load_dword s16, s[6:7], 0x4
	s_sub_u32 s6, 0, s14
	v_mov_b32_e32 v4, s15
	v_subrev_co_u32_e32 v5, vcc, s14, v0
	s_waitcnt lgkmcnt(0)
	s_mul_i32 s4, s16, s4
	s_subb_u32 s7, 0, s15
	s_add_i32 s4, s4, s3
	v_subb_co_u32_e32 v4, vcc, v1, v4, vcc
	v_mov_b32_e32 v2, s8
	s_mul_i32 s3, s13, s4
	s_mul_hi_u32 s8, s12, s4
	v_ashrrev_i32_e32 v6, 31, v4
	v_mov_b32_e32 v3, s9
	s_add_i32 s9, s8, s3
	s_mul_i32 s1, s1, s4
	s_mul_hi_u32 s3, s0, s4
	v_xor_b32_e32 v7, v4, v6
	v_xor_b32_e32 v4, v5, v6
	s_mul_i32 s8, s12, s4
	s_add_i32 s1, s3, s1
	v_cmp_gt_i64_e64 s[12:13], s[6:7], 0
	v_sub_co_u32_e32 v4, vcc, v4, v6
	s_and_b64 s[12:13], s[12:13], exec
	s_nop 0
	v_subb_co_u32_e32 v5, vcc, v7, v6, vcc
	s_cselect_b32 s12, s7, 0
	s_cselect_b32 s13, s6, 0
	v_cmp_gt_i64_e64 s[6:7], s[14:15], 0
	v_mov_b32_e32 v7, s5
	v_subrev_co_u32_e32 v6, vcc, s2, v0
	s_and_b64 s[6:7], s[6:7], exec
	s_nop 0
	v_subb_co_u32_e32 v7, vcc, v1, v7, vcc
	s_cselect_b32 s7, s15, 0
	s_cselect_b32 s6, s14, 0
	v_lshl_add_u64 v[6:7], v[6:7], 0, 1
	s_add_u32 s14, s2, s14
	v_ashrrev_i32_e32 v8, 31, v7
	s_addc_u32 s5, s5, s15
	s_not_b64 s[2:3], s[6:7]
	v_xor_b32_e32 v6, v6, v8
	s_add_u32 s2, s14, s2
	v_xor_b32_e32 v7, v7, v8
	v_sub_co_u32_e32 v6, vcc, v6, v8
	s_addc_u32 s3, s5, s3
	s_nop 0
	v_subb_co_u32_e32 v7, vcc, v7, v8, vcc
	s_add_u32 s2, s2, s13
	v_lshl_add_u64 v[6:7], v[0:1], 0, v[6:7]
	s_addc_u32 s3, s3, s12
	v_mov_b32_e32 v8, s3
	v_sub_co_u32_e32 v6, vcc, s2, v6
	s_mul_i32 s0, s0, s4
	s_nop 0
	v_subb_co_u32_e32 v7, vcc, v8, v7, vcc
	v_lshl_add_u64 v[2:3], v[6:7], 1, v[2:3]
	v_lshl_add_u64 v[2:3], v[4:5], 1, v[2:3]
	;; [unrolled: 1-line block ×3, first 2 shown]
	global_load_ushort v2, v[2:3], off
	s_lshl_b64 s[0:1], s[0:1], 1
	s_add_u32 s0, s10, s0
	s_addc_u32 s1, s11, s1
	v_lshl_add_u64 v[0:1], v[0:1], 1, s[0:1]
	s_waitcnt vmcnt(0)
	global_store_short v[0:1], v2, off
.LBB41_2:
	s_endpgm
	.section	.rodata,"a",@progbits
	.p2align	6, 0x0
	.amdhsa_kernel _ZN2at6native12_GLOBAL__N_127reflection_pad1d_out_kernelIN3c104HalfEEEvPKT_PS5_lll
		.amdhsa_group_segment_fixed_size 0
		.amdhsa_private_segment_fixed_size 0
		.amdhsa_kernarg_size 296
		.amdhsa_user_sgpr_count 2
		.amdhsa_user_sgpr_dispatch_ptr 0
		.amdhsa_user_sgpr_queue_ptr 0
		.amdhsa_user_sgpr_kernarg_segment_ptr 1
		.amdhsa_user_sgpr_dispatch_id 0
		.amdhsa_user_sgpr_kernarg_preload_length 0
		.amdhsa_user_sgpr_kernarg_preload_offset 0
		.amdhsa_user_sgpr_private_segment_size 0
		.amdhsa_uses_dynamic_stack 0
		.amdhsa_enable_private_segment 0
		.amdhsa_system_sgpr_workgroup_id_x 1
		.amdhsa_system_sgpr_workgroup_id_y 1
		.amdhsa_system_sgpr_workgroup_id_z 1
		.amdhsa_system_sgpr_workgroup_info 0
		.amdhsa_system_vgpr_workitem_id 0
		.amdhsa_next_free_vgpr 9
		.amdhsa_next_free_sgpr 18
		.amdhsa_accum_offset 12
		.amdhsa_reserve_vcc 1
		.amdhsa_float_round_mode_32 0
		.amdhsa_float_round_mode_16_64 0
		.amdhsa_float_denorm_mode_32 3
		.amdhsa_float_denorm_mode_16_64 3
		.amdhsa_dx10_clamp 1
		.amdhsa_ieee_mode 1
		.amdhsa_fp16_overflow 0
		.amdhsa_tg_split 0
		.amdhsa_exception_fp_ieee_invalid_op 0
		.amdhsa_exception_fp_denorm_src 0
		.amdhsa_exception_fp_ieee_div_zero 0
		.amdhsa_exception_fp_ieee_overflow 0
		.amdhsa_exception_fp_ieee_underflow 0
		.amdhsa_exception_fp_ieee_inexact 0
		.amdhsa_exception_int_div_zero 0
	.end_amdhsa_kernel
	.section	.text._ZN2at6native12_GLOBAL__N_127reflection_pad1d_out_kernelIN3c104HalfEEEvPKT_PS5_lll,"axG",@progbits,_ZN2at6native12_GLOBAL__N_127reflection_pad1d_out_kernelIN3c104HalfEEEvPKT_PS5_lll,comdat
.Lfunc_end41:
	.size	_ZN2at6native12_GLOBAL__N_127reflection_pad1d_out_kernelIN3c104HalfEEEvPKT_PS5_lll, .Lfunc_end41-_ZN2at6native12_GLOBAL__N_127reflection_pad1d_out_kernelIN3c104HalfEEEvPKT_PS5_lll
                                        ; -- End function
	.set _ZN2at6native12_GLOBAL__N_127reflection_pad1d_out_kernelIN3c104HalfEEEvPKT_PS5_lll.num_vgpr, 9
	.set _ZN2at6native12_GLOBAL__N_127reflection_pad1d_out_kernelIN3c104HalfEEEvPKT_PS5_lll.num_agpr, 0
	.set _ZN2at6native12_GLOBAL__N_127reflection_pad1d_out_kernelIN3c104HalfEEEvPKT_PS5_lll.numbered_sgpr, 18
	.set _ZN2at6native12_GLOBAL__N_127reflection_pad1d_out_kernelIN3c104HalfEEEvPKT_PS5_lll.num_named_barrier, 0
	.set _ZN2at6native12_GLOBAL__N_127reflection_pad1d_out_kernelIN3c104HalfEEEvPKT_PS5_lll.private_seg_size, 0
	.set _ZN2at6native12_GLOBAL__N_127reflection_pad1d_out_kernelIN3c104HalfEEEvPKT_PS5_lll.uses_vcc, 1
	.set _ZN2at6native12_GLOBAL__N_127reflection_pad1d_out_kernelIN3c104HalfEEEvPKT_PS5_lll.uses_flat_scratch, 0
	.set _ZN2at6native12_GLOBAL__N_127reflection_pad1d_out_kernelIN3c104HalfEEEvPKT_PS5_lll.has_dyn_sized_stack, 0
	.set _ZN2at6native12_GLOBAL__N_127reflection_pad1d_out_kernelIN3c104HalfEEEvPKT_PS5_lll.has_recursion, 0
	.set _ZN2at6native12_GLOBAL__N_127reflection_pad1d_out_kernelIN3c104HalfEEEvPKT_PS5_lll.has_indirect_call, 0
	.section	.AMDGPU.csdata,"",@progbits
; Kernel info:
; codeLenInByte = 400
; TotalNumSgprs: 24
; NumVgprs: 9
; NumAgprs: 0
; TotalNumVgprs: 9
; ScratchSize: 0
; MemoryBound: 0
; FloatMode: 240
; IeeeMode: 1
; LDSByteSize: 0 bytes/workgroup (compile time only)
; SGPRBlocks: 2
; VGPRBlocks: 1
; NumSGPRsForWavesPerEU: 24
; NumVGPRsForWavesPerEU: 9
; AccumOffset: 12
; Occupancy: 8
; WaveLimiterHint : 0
; COMPUTE_PGM_RSRC2:SCRATCH_EN: 0
; COMPUTE_PGM_RSRC2:USER_SGPR: 2
; COMPUTE_PGM_RSRC2:TRAP_HANDLER: 0
; COMPUTE_PGM_RSRC2:TGID_X_EN: 1
; COMPUTE_PGM_RSRC2:TGID_Y_EN: 1
; COMPUTE_PGM_RSRC2:TGID_Z_EN: 1
; COMPUTE_PGM_RSRC2:TIDIG_COMP_CNT: 0
; COMPUTE_PGM_RSRC3_GFX90A:ACCUM_OFFSET: 2
; COMPUTE_PGM_RSRC3_GFX90A:TG_SPLIT: 0
	.section	.text._ZN2at6native12_GLOBAL__N_121reflection_pad1d_flatIN3c104HalfEEEvPKT_PS5_lllll,"axG",@progbits,_ZN2at6native12_GLOBAL__N_121reflection_pad1d_flatIN3c104HalfEEEvPKT_PS5_lllll,comdat
	.globl	_ZN2at6native12_GLOBAL__N_121reflection_pad1d_flatIN3c104HalfEEEvPKT_PS5_lllll ; -- Begin function _ZN2at6native12_GLOBAL__N_121reflection_pad1d_flatIN3c104HalfEEEvPKT_PS5_lllll
	.p2align	8
	.type	_ZN2at6native12_GLOBAL__N_121reflection_pad1d_flatIN3c104HalfEEEvPKT_PS5_lllll,@function
_ZN2at6native12_GLOBAL__N_121reflection_pad1d_flatIN3c104HalfEEEvPKT_PS5_lllll: ; @_ZN2at6native12_GLOBAL__N_121reflection_pad1d_flatIN3c104HalfEEEvPKT_PS5_lllll
; %bb.0:
	s_load_dword s3, s[0:1], 0x44
	s_load_dwordx4 s[8:11], s[0:1], 0x28
	s_add_u32 s4, s0, 56
	s_addc_u32 s5, s1, 0
	v_mov_b32_e32 v1, 0
	s_waitcnt lgkmcnt(0)
	s_and_b32 s3, s3, 0xffff
	s_mul_i32 s6, s10, s9
	s_mul_hi_u32 s7, s10, s8
	s_add_i32 s6, s7, s6
	s_mul_i32 s7, s11, s8
	v_mov_b32_e32 v2, s2
	s_add_i32 s7, s6, s7
	s_mul_i32 s6, s10, s8
	v_mad_u64_u32 v[2:3], s[10:11], s3, v2, v[0:1]
	v_cmp_gt_i64_e32 vcc, s[6:7], v[2:3]
	s_and_saveexec_b64 s[10:11], vcc
	s_cbranch_execz .LBB42_64
; %bb.1:
	s_load_dword s58, s[4:5], 0x0
	v_mov_b32_e32 v4, s3
	s_mov_b32 s59, 0
	v_mov_b32_e32 v5, s59
	s_waitcnt lgkmcnt(0)
	s_add_u32 s4, s2, s58
	s_addc_u32 s5, 0, 0
	s_mul_i32 s12, s5, s3
	v_mad_u64_u32 v[10:11], s[4:5], s4, v4, v[0:1]
	v_add_u32_e32 v11, s12, v11
	v_mov_b32_e32 v4, s7
	v_cmp_gt_i64_e32 vcc, s[6:7], v[10:11]
	s_mul_hi_u32 s11, s3, s58
	s_mul_i32 s10, s3, s58
	v_cndmask_b32_e32 v9, v11, v4, vcc
	v_mov_b32_e32 v4, s6
	v_cndmask_b32_e32 v8, v10, v4, vcc
	v_cndmask_b32_e64 v4, 0, 1, vcc
	v_lshl_add_u64 v[6:7], v[10:11], 0, v[4:5]
	v_sub_co_u32_e32 v8, vcc, v8, v6
	v_mov_b32_e32 v6, v1
	s_nop 0
	v_subb_co_u32_e32 v9, vcc, v9, v7, vcc
	v_or_b32_e32 v7, s11, v9
	v_cmp_ne_u64_e32 vcc, 0, v[6:7]
                                        ; implicit-def: $vgpr6_vgpr7
	s_and_saveexec_b64 s[4:5], vcc
	s_xor_b64 s[12:13], exec, s[4:5]
	s_cbranch_execz .LBB42_3
; %bb.2:
	v_cvt_f32_u32_e32 v6, s10
	v_cvt_f32_u32_e32 v7, s11
	s_sub_u32 s14, 0, s10
	s_subb_u32 s15, 0, s11
	v_mov_b32_e32 v13, 0
	v_fmamk_f32 v6, v7, 0x4f800000, v6
	v_rcp_f32_e32 v6, v6
	s_nop 0
	v_mul_f32_e32 v6, 0x5f7ffffc, v6
	v_mul_f32_e32 v7, 0x2f800000, v6
	v_trunc_f32_e32 v7, v7
	v_fmamk_f32 v6, v7, 0xcf800000, v6
	v_cvt_u32_f32_e32 v7, v7
	v_cvt_u32_f32_e32 v6, v6
	v_readfirstlane_b32 s16, v7
	v_readfirstlane_b32 s4, v6
	s_mul_i32 s5, s14, s16
	s_mul_hi_u32 s18, s14, s4
	s_mul_i32 s17, s15, s4
	s_add_i32 s5, s18, s5
	s_mul_i32 s19, s14, s4
	s_add_i32 s5, s5, s17
	s_mul_i32 s18, s4, s5
	s_mul_hi_u32 s20, s4, s19
	s_mul_hi_u32 s17, s4, s5
	s_add_u32 s18, s20, s18
	s_addc_u32 s17, 0, s17
	s_mul_hi_u32 s21, s16, s19
	s_mul_i32 s19, s16, s19
	s_add_u32 s18, s18, s19
	s_mul_hi_u32 s20, s16, s5
	s_addc_u32 s17, s17, s21
	s_addc_u32 s18, s20, 0
	s_mul_i32 s5, s16, s5
	s_add_u32 s5, s17, s5
	s_addc_u32 s17, 0, s18
	s_add_u32 s18, s4, s5
	s_cselect_b64 s[4:5], -1, 0
	s_cmp_lg_u64 s[4:5], 0
	s_addc_u32 s16, s16, s17
	s_mul_i32 s4, s14, s16
	s_mul_hi_u32 s5, s14, s18
	s_add_i32 s4, s5, s4
	s_mul_i32 s15, s15, s18
	s_add_i32 s4, s4, s15
	s_mul_i32 s14, s14, s18
	s_mul_hi_u32 s15, s16, s14
	s_mul_i32 s17, s16, s14
	s_mul_i32 s20, s18, s4
	s_mul_hi_u32 s14, s18, s14
	s_mul_hi_u32 s19, s18, s4
	s_add_u32 s14, s14, s20
	s_addc_u32 s19, 0, s19
	s_add_u32 s14, s14, s17
	s_mul_hi_u32 s5, s16, s4
	s_addc_u32 s14, s19, s15
	s_addc_u32 s5, s5, 0
	s_mul_i32 s4, s16, s4
	s_add_u32 s4, s14, s4
	s_addc_u32 s14, 0, s5
	s_add_u32 s15, s18, s4
	s_cselect_b64 s[4:5], -1, 0
	s_cmp_lg_u64 s[4:5], 0
	s_addc_u32 s14, s16, s14
	v_mad_u64_u32 v[6:7], s[4:5], v8, s14, 0
	v_mul_hi_u32 v12, v8, s15
	v_lshl_add_u64 v[6:7], v[12:13], 0, v[6:7]
	v_mad_u64_u32 v[16:17], s[4:5], v9, s15, 0
	v_add_co_u32_e32 v6, vcc, v6, v16
	v_mad_u64_u32 v[14:15], s[4:5], v9, s14, 0
	s_nop 0
	v_addc_co_u32_e32 v12, vcc, v7, v17, vcc
	s_nop 1
	v_addc_co_u32_e32 v15, vcc, 0, v15, vcc
	v_lshl_add_u64 v[6:7], v[12:13], 0, v[14:15]
	v_mul_lo_u32 v14, s11, v6
	v_mul_lo_u32 v15, s10, v7
	v_mad_u64_u32 v[12:13], s[4:5], s10, v6, 0
	v_add3_u32 v16, v13, v15, v14
	v_sub_u32_e32 v13, v9, v16
	v_mov_b32_e32 v14, s11
	v_sub_co_u32_e32 v8, vcc, v8, v12
	s_nop 1
	v_subb_co_u32_e64 v12, s[4:5], v13, v14, vcc
	v_subrev_co_u32_e64 v13, s[4:5], s10, v8
	v_subb_co_u32_e32 v9, vcc, v9, v16, vcc
	s_nop 0
	v_subbrev_co_u32_e64 v12, s[4:5], 0, v12, s[4:5]
	v_cmp_le_u32_e64 s[4:5], s11, v12
	v_cmp_le_u32_e32 vcc, s11, v9
	s_nop 0
	v_cndmask_b32_e64 v14, 0, -1, s[4:5]
	v_cmp_le_u32_e64 s[4:5], s10, v13
	s_nop 1
	v_cndmask_b32_e64 v13, 0, -1, s[4:5]
	v_cmp_eq_u32_e64 s[4:5], s11, v12
	s_nop 1
	v_cndmask_b32_e64 v17, v14, v13, s[4:5]
	v_lshl_add_u64 v[12:13], v[6:7], 0, 2
	v_lshl_add_u64 v[14:15], v[6:7], 0, 1
	v_cmp_ne_u32_e64 s[4:5], 0, v17
	s_nop 1
	v_cndmask_b32_e64 v13, v15, v13, s[4:5]
	v_cndmask_b32_e64 v15, 0, -1, vcc
	v_cmp_le_u32_e32 vcc, s10, v8
	s_nop 1
	v_cndmask_b32_e64 v8, 0, -1, vcc
	v_cmp_eq_u32_e32 vcc, s11, v9
	s_nop 1
	v_cndmask_b32_e32 v8, v15, v8, vcc
	v_cmp_ne_u32_e32 vcc, 0, v8
	v_cndmask_b32_e64 v8, v14, v12, s[4:5]
	s_nop 0
	v_cndmask_b32_e32 v7, v7, v13, vcc
	v_cndmask_b32_e32 v6, v6, v8, vcc
                                        ; implicit-def: $vgpr8
.LBB42_3:
	s_or_saveexec_b64 s[4:5], s[12:13]
	s_load_dwordx4 s[12:15], s[0:1], 0x0
	s_xor_b64 exec, exec, s[4:5]
	s_cbranch_execz .LBB42_5
; %bb.4:
	v_cvt_f32_u32_e32 v6, s10
	s_sub_i32 s16, 0, s10
	v_rcp_iflag_f32_e32 v6, v6
	s_nop 0
	v_mul_f32_e32 v6, 0x4f7ffffe, v6
	v_cvt_u32_f32_e32 v6, v6
	v_mul_lo_u32 v7, s16, v6
	v_mul_hi_u32 v7, v6, v7
	v_add_u32_e32 v6, v6, v7
	v_mul_hi_u32 v6, v8, v6
	v_mul_lo_u32 v7, v6, s10
	v_sub_u32_e32 v7, v8, v7
	v_add_u32_e32 v9, 1, v6
	v_subrev_u32_e32 v8, s10, v7
	v_cmp_le_u32_e32 vcc, s10, v7
	s_nop 1
	v_cndmask_b32_e32 v7, v7, v8, vcc
	v_cndmask_b32_e32 v6, v6, v9, vcc
	v_add_u32_e32 v8, 1, v6
	v_cmp_le_u32_e32 vcc, s10, v7
	v_mov_b32_e32 v7, 0
	s_nop 0
	v_cndmask_b32_e32 v6, v6, v8, vcc
.LBB42_5:
	s_or_b64 exec, exec, s[4:5]
	s_load_dwordx4 s[16:19], s[0:1], 0x10
	v_lshl_add_u64 v[4:5], v[6:7], 0, v[4:5]
	v_lshl_add_u64 v[20:21], v[4:5], 0, 1
	s_mov_b64 s[0:1], 0
	v_cmp_lt_u64_e32 vcc, 3, v[20:21]
	s_waitcnt lgkmcnt(0)
	s_lshl_b64 s[4:5], s[16:17], 1
	s_add_u32 s20, s4, -2
	s_addc_u32 s21, s5, -1
	v_cmp_lt_i64_e64 s[26:27], s[20:21], 1
	v_cmp_gt_i64_e64 s[22:23], s[20:21], 0
                                        ; implicit-def: $vgpr4_vgpr5
                                        ; implicit-def: $vgpr6_vgpr7
	s_and_saveexec_b64 s[4:5], vcc
	s_xor_b64 s[24:25], exec, s[4:5]
	s_cbranch_execnz .LBB42_8
; %bb.6:
	s_andn2_saveexec_b64 s[2:3], s[24:25]
	s_cbranch_execnz .LBB42_51
.LBB42_7:
	s_or_b64 exec, exec, s[2:3]
	s_and_b64 exec, exec, s[0:1]
	s_cbranch_execnz .LBB42_52
	s_branch .LBB42_64
.LBB42_8:
	v_mad_u64_u32 v[8:9], s[0:1], s10, 3, v[2:3]
	v_mov_b32_e32 v12, v9
	s_xor_b64 s[28:29], s[26:27], -1
	v_mad_u64_u32 v[6:7], s[0:1], s10, 2, v[2:3]
	v_mad_u64_u32 v[4:5], s[0:1], s10, 1, v[2:3]
	;; [unrolled: 1-line block ×3, first 2 shown]
	s_lshl_b64 s[42:43], s[10:11], 2
	s_sub_u32 s40, 0, s8
	s_mul_i32 s0, s11, 6
	s_mul_hi_u32 s1, s10, 6
	s_subb_u32 s41, 0, s9
	s_add_i32 s55, s1, s0
	s_lshl_b64 s[56:57], s[10:11], 3
	s_lshl_b64 s[52:53], s[10:11], 1
	;; [unrolled: 1-line block ×3, first 2 shown]
	s_add_u32 s0, s0, s2
	v_mov_b32_e32 v9, v12
	v_mov_b32_e32 v12, s19
	v_subrev_co_u32_e32 v24, vcc, s18, v2
	s_addc_u32 s1, s1, 0
	v_mov_b32_e32 v14, s3
	v_subb_co_u32_e32 v25, vcc, v3, v12, vcc
	s_mul_i32 s4, s1, s3
	v_mad_u64_u32 v[12:13], s[0:1], s0, v14, v[0:1]
	s_mul_i32 s1, s58, 3
	s_mul_hi_u32 s0, s58, 3
	s_add_u32 s1, s1, s2
	v_add_u32_e32 v13, s4, v13
	v_mov_b32_e32 v15, s19
	v_subrev_co_u32_e32 v28, vcc, s18, v12
	s_addc_u32 s0, s0, 0
	s_nop 0
	v_subb_co_u32_e32 v29, vcc, v13, v15, vcc
	s_mul_i32 s2, s0, s3
	v_mad_u64_u32 v[0:1], s[0:1], s1, v14, v[0:1]
	v_add_u32_e32 v1, s2, v1
	v_mov_b32_e32 v12, s19
	v_subrev_co_u32_e32 v0, vcc, s18, v0
	v_lshl_add_u32 v7, s11, 1, v7
	s_nop 0
	v_subb_co_u32_e32 v1, vcc, v1, v12, vcc
	v_add_u32_e32 v5, s11, v5
	v_subrev_co_u32_e32 v30, vcc, s18, v10
	v_and_b32_e32 v22, -4, v20
	v_mov_b32_e32 v23, v21
	v_subb_co_u32_e32 v31, vcc, v11, v12, vcc
	v_mov_b64_e32 v[10:11], v[8:9]
	s_mov_b32 s33, s20
	s_mov_b32 s62, s21
	;; [unrolled: 1-line block ×20, first 2 shown]
	s_mov_b64 s[50:51], 0
	s_mul_i32 s54, s10, 6
	v_lshl_add_u64 v[26:27], v[2:3], 1, s[14:15]
	v_mov_b32_e32 v32, 0
	v_mov_b64_e32 v[34:35], v[22:23]
	v_mov_b64_e32 v[8:9], v[6:7]
	;; [unrolled: 1-line block ×4, first 2 shown]
	s_branch .LBB42_11
.LBB42_9:                               ;   in Loop: Header=BB42_11 Depth=1
	s_or_b64 exec, exec, s[0:1]
.LBB42_10:                              ;   in Loop: Header=BB42_11 Depth=1
	v_ashrrev_i32_e32 v33, 31, v19
	v_and_b32_e32 v45, s66, v33
	v_and_b32_e32 v44, s65, v33
	v_ashrrev_i32_e32 v33, 31, v17
	v_and_b32_e32 v47, s64, v33
	v_and_b32_e32 v46, s63, v33
	;; [unrolled: 3-line block ×3, first 2 shown]
	v_ashrrev_i32_e32 v33, 31, v13
	v_lshl_add_u64 v[18:19], v[44:45], 0, v[18:19]
	v_and_b32_e32 v51, s21, v33
	v_and_b32_e32 v50, s20, v33
	v_mov_b32_e32 v33, s66
	v_sub_co_u32_e32 v44, vcc, s65, v18
	v_lshl_add_u64 v[16:17], v[46:47], 0, v[16:17]
	s_nop 0
	v_subb_co_u32_e32 v33, vcc, v33, v19, vcc
	v_mov_b32_e32 v45, s64
	v_sub_co_u32_e32 v46, vcc, s63, v16
	v_lshl_add_u64 v[14:15], v[48:49], 0, v[14:15]
	s_nop 0
	v_subb_co_u32_e32 v45, vcc, v45, v17, vcc
	;; [unrolled: 5-line block ×3, first 2 shown]
	v_mov_b32_e32 v49, s21
	v_sub_co_u32_e32 v50, vcc, s20, v12
	v_lshl_add_u64 v[34:35], v[34:35], 0, -4
	s_nop 0
	v_subb_co_u32_e32 v49, vcc, v49, v13, vcc
	v_cmp_gt_i64_e32 vcc, s[30:31], v[12:13]
	v_lshl_add_u64 v[10:11], v[10:11], 0, s[48:49]
	v_lshl_add_u64 v[8:9], v[8:9], 0, s[46:47]
	v_cndmask_b32_e32 v50, v50, v12, vcc
	v_cndmask_b32_e32 v49, v49, v13, vcc
	v_cmp_gt_i64_e32 vcc, s[34:35], v[14:15]
	v_lshl_add_u64 v[6:7], v[6:7], 0, s[44:45]
	v_lshl_add_u64 v[4:5], v[4:5], 0, s[42:43]
	v_cndmask_b32_e32 v48, v48, v14, vcc
	v_cndmask_b32_e32 v47, v47, v15, vcc
	;; [unrolled: 5-line block ×3, first 2 shown]
	v_cmp_gt_i64_e32 vcc, s[38:39], v[18:19]
	v_cndmask_b32_e64 v15, v15, 0, s[26:27]
	v_cndmask_b32_e64 v14, v14, 0, s[26:27]
	v_cndmask_b32_e32 v12, v44, v18, vcc
	v_cndmask_b32_e32 v13, v33, v19, vcc
	v_mul_lo_u32 v33, v43, s38
	v_mul_lo_u32 v44, v42, s39
	v_mad_u64_u32 v[42:43], s[0:1], v42, s38, 0
	v_add3_u32 v43, v43, v44, v33
	v_mul_lo_u32 v33, v41, s36
	v_mul_lo_u32 v44, v40, s37
	v_mad_u64_u32 v[40:41], s[0:1], v40, s36, 0
	v_add3_u32 v41, v41, v44, v33
	;; [unrolled: 4-line block ×4, first 2 shown]
	v_cndmask_b32_e64 v19, v49, 0, s[26:27]
	v_cndmask_b32_e64 v18, v50, 0, s[26:27]
	v_lshl_add_u64 v[36:37], v[36:37], 1, s[12:13]
	v_cndmask_b32_e64 v13, v13, 0, s[26:27]
	v_cndmask_b32_e64 v12, v12, 0, s[26:27]
	;; [unrolled: 1-line block ×4, first 2 shown]
	v_lshl_add_u64 v[38:39], v[38:39], 1, s[12:13]
	v_lshl_add_u64 v[40:41], v[40:41], 1, s[12:13]
	;; [unrolled: 1-line block ×7, first 2 shown]
	global_load_ushort v18, v[18:19], off
	s_nop 0
	global_load_ushort v19, v[16:17], off
	global_load_ushort v33, v[14:15], off
	;; [unrolled: 1-line block ×3, first 2 shown]
	v_cmp_eq_u64_e32 vcc, 0, v[34:35]
	v_lshl_add_u64 v[12:13], v[26:27], 0, s[52:53]
	v_lshl_add_u64 v[14:15], v[26:27], 0, s[42:43]
	;; [unrolled: 1-line block ×4, first 2 shown]
	s_or_b64 s[50:51], vcc, s[50:51]
	v_lshl_add_u64 v[30:31], v[30:31], 0, s[42:43]
	s_waitcnt vmcnt(3)
	global_store_short v[26:27], v18, off
	s_waitcnt vmcnt(3)
	global_store_short v[12:13], v19, off
	s_waitcnt vmcnt(3)
	global_store_short v[14:15], v33, off
	s_waitcnt vmcnt(3)
	global_store_short v[16:17], v36, off
	v_lshl_add_u64 v[26:27], v[26:27], 0, s[56:57]
	s_andn2_b64 exec, exec, s[50:51]
	s_cbranch_execz .LBB42_50
.LBB42_11:                              ; =>This Inner Loop Header: Depth=1
	v_or_b32_e32 v33, s9, v5
	v_cmp_ne_u64_e32 vcc, 0, v[32:33]
                                        ; implicit-def: $vgpr36_vgpr37
	s_and_saveexec_b64 s[0:1], vcc
	s_xor_b64 s[2:3], exec, s[0:1]
	s_cbranch_execz .LBB42_13
; %bb.12:                               ;   in Loop: Header=BB42_11 Depth=1
	s_ashr_i32 s4, s9, 31
	s_add_u32 s0, s8, s4
	s_mov_b32 s5, s4
	s_addc_u32 s1, s9, s4
	s_xor_b64 s[58:59], s[0:1], s[4:5]
	v_cvt_f32_u32_e32 v12, s58
	v_cvt_f32_u32_e32 v13, s59
	s_sub_u32 s5, 0, s58
	s_subb_u32 s60, 0, s59
	v_mov_b32_e32 v17, v32
	v_fmac_f32_e32 v12, 0x4f800000, v13
	v_rcp_f32_e32 v12, v12
	s_nop 0
	v_mul_f32_e32 v12, 0x5f7ffffc, v12
	v_mul_f32_e32 v13, 0x2f800000, v12
	v_trunc_f32_e32 v13, v13
	v_fmac_f32_e32 v12, 0xcf800000, v13
	v_cvt_u32_f32_e32 v13, v13
	v_cvt_u32_f32_e32 v12, v12
	v_readfirstlane_b32 s61, v13
	v_readfirstlane_b32 s0, v12
	s_mul_i32 s1, s5, s61
	s_mul_hi_u32 s68, s5, s0
	s_mul_i32 s67, s60, s0
	s_add_i32 s1, s68, s1
	s_add_i32 s1, s1, s67
	s_mul_i32 s69, s5, s0
	s_mul_i32 s68, s0, s1
	s_mul_hi_u32 s70, s0, s69
	s_mul_hi_u32 s67, s0, s1
	s_add_u32 s68, s70, s68
	s_addc_u32 s67, 0, s67
	s_mul_hi_u32 s71, s61, s69
	s_mul_i32 s69, s61, s69
	s_add_u32 s68, s68, s69
	s_mul_hi_u32 s70, s61, s1
	s_addc_u32 s67, s67, s71
	s_addc_u32 s68, s70, 0
	s_mul_i32 s1, s61, s1
	s_add_u32 s1, s67, s1
	s_addc_u32 s67, 0, s68
	s_add_u32 s68, s0, s1
	s_cselect_b64 s[0:1], -1, 0
	s_cmp_lg_u64 s[0:1], 0
	s_addc_u32 s61, s61, s67
	s_mul_i32 s0, s5, s61
	s_mul_hi_u32 s1, s5, s68
	s_add_i32 s0, s1, s0
	s_mul_i32 s60, s60, s68
	s_add_i32 s0, s0, s60
	s_mul_i32 s5, s5, s68
	s_mul_hi_u32 s60, s61, s5
	s_mul_i32 s67, s61, s5
	s_mul_i32 s70, s68, s0
	s_mul_hi_u32 s5, s68, s5
	s_mul_hi_u32 s69, s68, s0
	s_add_u32 s5, s5, s70
	s_addc_u32 s69, 0, s69
	s_add_u32 s5, s5, s67
	s_mul_hi_u32 s1, s61, s0
	s_addc_u32 s5, s69, s60
	s_addc_u32 s1, s1, 0
	s_mul_i32 s0, s61, s0
	s_add_u32 s0, s5, s0
	s_addc_u32 s5, 0, s1
	s_add_u32 s60, s68, s0
	v_ashrrev_i32_e32 v12, 31, v5
	s_cselect_b64 s[0:1], -1, 0
	v_mov_b32_e32 v13, v12
	s_cmp_lg_u64 s[0:1], 0
	v_lshl_add_u64 v[14:15], v[4:5], 0, v[12:13]
	s_addc_u32 s5, s61, s5
	v_xor_b32_e32 v33, v14, v12
	v_xor_b32_e32 v13, v15, v12
	v_mad_u64_u32 v[14:15], s[0:1], v33, s5, 0
	v_mul_hi_u32 v16, v33, s60
	v_lshl_add_u64 v[14:15], v[16:17], 0, v[14:15]
	v_mad_u64_u32 v[18:19], s[0:1], v13, s60, 0
	v_add_co_u32_e32 v14, vcc, v14, v18
	v_mad_u64_u32 v[16:17], s[0:1], v13, s5, 0
	s_nop 0
	v_addc_co_u32_e32 v14, vcc, v15, v19, vcc
	v_mov_b32_e32 v15, v32
	s_nop 0
	v_addc_co_u32_e32 v17, vcc, 0, v17, vcc
	v_lshl_add_u64 v[14:15], v[14:15], 0, v[16:17]
	v_mul_lo_u32 v18, s59, v14
	v_mul_lo_u32 v19, s58, v15
	v_mad_u64_u32 v[16:17], s[0:1], s58, v14, 0
	v_add3_u32 v36, v17, v19, v18
	v_sub_u32_e32 v17, v13, v36
	v_mov_b32_e32 v18, s59
	v_sub_co_u32_e32 v33, vcc, v33, v16
	v_xor_b32_e32 v12, s4, v12
	s_nop 0
	v_subb_co_u32_e64 v16, s[0:1], v17, v18, vcc
	v_subrev_co_u32_e64 v17, s[0:1], s58, v33
	v_subb_co_u32_e32 v13, vcc, v13, v36, vcc
	s_nop 0
	v_subbrev_co_u32_e64 v16, s[0:1], 0, v16, s[0:1]
	v_cmp_le_u32_e64 s[0:1], s59, v16
	v_cmp_le_u32_e32 vcc, s59, v13
	s_nop 0
	v_cndmask_b32_e64 v18, 0, -1, s[0:1]
	v_cmp_le_u32_e64 s[0:1], s58, v17
	s_nop 1
	v_cndmask_b32_e64 v17, 0, -1, s[0:1]
	v_cmp_eq_u32_e64 s[0:1], s59, v16
	s_nop 1
	v_cndmask_b32_e64 v37, v18, v17, s[0:1]
	v_lshl_add_u64 v[16:17], v[14:15], 0, 2
	v_lshl_add_u64 v[18:19], v[14:15], 0, 1
	v_cmp_ne_u32_e64 s[0:1], 0, v37
	s_nop 1
	v_cndmask_b32_e64 v17, v19, v17, s[0:1]
	v_cndmask_b32_e64 v19, 0, -1, vcc
	v_cmp_le_u32_e32 vcc, s58, v33
	s_nop 1
	v_cndmask_b32_e64 v33, 0, -1, vcc
	v_cmp_eq_u32_e32 vcc, s59, v13
	s_nop 1
	v_cndmask_b32_e32 v13, v19, v33, vcc
	v_cmp_ne_u32_e32 vcc, 0, v13
	s_nop 1
	v_cndmask_b32_e32 v13, v15, v17, vcc
	v_cndmask_b32_e64 v15, v18, v16, s[0:1]
	v_cndmask_b32_e32 v14, v14, v15, vcc
	v_xor_b32_e32 v14, v14, v12
	v_xor_b32_e32 v13, v13, v12
	v_sub_co_u32_e32 v36, vcc, v14, v12
	s_nop 1
	v_subb_co_u32_e32 v37, vcc, v13, v12, vcc
.LBB42_13:                              ;   in Loop: Header=BB42_11 Depth=1
	s_or_saveexec_b64 s[0:1], s[2:3]
	v_cvt_f32_u32_e32 v12, s8
	v_rcp_iflag_f32_e32 v12, v12
	s_xor_b64 exec, exec, s[0:1]
	s_cbranch_execz .LBB42_15
; %bb.14:                               ;   in Loop: Header=BB42_11 Depth=1
	v_mul_f32_e32 v13, 0x4f7ffffe, v12
	v_cvt_u32_f32_e32 v13, v13
	s_sub_i32 s2, 0, s8
	v_mov_b32_e32 v37, v32
	v_mul_lo_u32 v14, s2, v13
	v_mul_hi_u32 v14, v13, v14
	v_add_u32_e32 v13, v13, v14
	v_mul_hi_u32 v13, v4, v13
	v_mul_lo_u32 v14, v13, s8
	v_sub_u32_e32 v14, v4, v14
	v_add_u32_e32 v15, 1, v13
	v_subrev_u32_e32 v16, s8, v14
	v_cmp_le_u32_e32 vcc, s8, v14
	s_nop 1
	v_cndmask_b32_e32 v14, v14, v16, vcc
	v_cndmask_b32_e32 v13, v13, v15, vcc
	v_add_u32_e32 v15, 1, v13
	v_cmp_le_u32_e32 vcc, s8, v14
	s_nop 1
	v_cndmask_b32_e32 v36, v13, v15, vcc
.LBB42_15:                              ;   in Loop: Header=BB42_11 Depth=1
	s_or_b64 exec, exec, s[0:1]
	v_or_b32_e32 v33, s9, v7
	v_cmp_ne_u64_e32 vcc, 0, v[32:33]
                                        ; implicit-def: $vgpr38_vgpr39
	s_and_saveexec_b64 s[0:1], vcc
	s_xor_b64 s[2:3], exec, s[0:1]
	s_cbranch_execz .LBB42_17
; %bb.16:                               ;   in Loop: Header=BB42_11 Depth=1
	s_ashr_i32 s4, s9, 31
	s_add_u32 s0, s8, s4
	s_mov_b32 s5, s4
	s_addc_u32 s1, s9, s4
	s_xor_b64 s[58:59], s[0:1], s[4:5]
	v_cvt_f32_u32_e32 v13, s58
	v_cvt_f32_u32_e32 v14, s59
	s_sub_u32 s5, 0, s58
	s_subb_u32 s60, 0, s59
	v_mov_b32_e32 v19, v32
	v_fmac_f32_e32 v13, 0x4f800000, v14
	v_rcp_f32_e32 v13, v13
	s_nop 0
	v_mul_f32_e32 v13, 0x5f7ffffc, v13
	v_mul_f32_e32 v14, 0x2f800000, v13
	v_trunc_f32_e32 v14, v14
	v_fmac_f32_e32 v13, 0xcf800000, v14
	v_cvt_u32_f32_e32 v14, v14
	v_cvt_u32_f32_e32 v13, v13
	v_readfirstlane_b32 s61, v14
	v_readfirstlane_b32 s0, v13
	s_mul_i32 s1, s5, s61
	s_mul_hi_u32 s68, s5, s0
	s_mul_i32 s67, s60, s0
	s_add_i32 s1, s68, s1
	s_add_i32 s1, s1, s67
	s_mul_i32 s69, s5, s0
	s_mul_i32 s68, s0, s1
	s_mul_hi_u32 s70, s0, s69
	s_mul_hi_u32 s67, s0, s1
	s_add_u32 s68, s70, s68
	s_addc_u32 s67, 0, s67
	s_mul_hi_u32 s71, s61, s69
	s_mul_i32 s69, s61, s69
	s_add_u32 s68, s68, s69
	s_mul_hi_u32 s70, s61, s1
	s_addc_u32 s67, s67, s71
	s_addc_u32 s68, s70, 0
	s_mul_i32 s1, s61, s1
	s_add_u32 s1, s67, s1
	s_addc_u32 s67, 0, s68
	s_add_u32 s68, s0, s1
	s_cselect_b64 s[0:1], -1, 0
	s_cmp_lg_u64 s[0:1], 0
	s_addc_u32 s61, s61, s67
	s_mul_i32 s0, s5, s61
	s_mul_hi_u32 s1, s5, s68
	s_add_i32 s0, s1, s0
	s_mul_i32 s60, s60, s68
	s_add_i32 s0, s0, s60
	s_mul_i32 s5, s5, s68
	s_mul_hi_u32 s60, s61, s5
	s_mul_i32 s67, s61, s5
	s_mul_i32 s70, s68, s0
	s_mul_hi_u32 s5, s68, s5
	s_mul_hi_u32 s69, s68, s0
	s_add_u32 s5, s5, s70
	s_addc_u32 s69, 0, s69
	s_add_u32 s5, s5, s67
	s_mul_hi_u32 s1, s61, s0
	s_addc_u32 s5, s69, s60
	s_addc_u32 s1, s1, 0
	s_mul_i32 s0, s61, s0
	s_add_u32 s0, s5, s0
	s_addc_u32 s5, 0, s1
	s_add_u32 s60, s68, s0
	v_ashrrev_i32_e32 v14, 31, v7
	s_cselect_b64 s[0:1], -1, 0
	v_mov_b32_e32 v15, v14
	s_cmp_lg_u64 s[0:1], 0
	v_lshl_add_u64 v[16:17], v[6:7], 0, v[14:15]
	s_addc_u32 s5, s61, s5
	v_xor_b32_e32 v15, v16, v14
	v_xor_b32_e32 v13, v17, v14
	v_mad_u64_u32 v[16:17], s[0:1], v15, s5, 0
	v_mul_hi_u32 v18, v15, s60
	v_lshl_add_u64 v[16:17], v[18:19], 0, v[16:17]
	v_mad_u64_u32 v[38:39], s[0:1], v13, s60, 0
	v_add_co_u32_e32 v16, vcc, v16, v38
	v_mad_u64_u32 v[18:19], s[0:1], v13, s5, 0
	s_nop 0
	v_addc_co_u32_e32 v16, vcc, v17, v39, vcc
	v_mov_b32_e32 v17, v32
	s_nop 0
	v_addc_co_u32_e32 v19, vcc, 0, v19, vcc
	v_lshl_add_u64 v[16:17], v[16:17], 0, v[18:19]
	v_mul_lo_u32 v33, s59, v16
	v_mul_lo_u32 v38, s58, v17
	v_mad_u64_u32 v[18:19], s[0:1], s58, v16, 0
	v_add3_u32 v33, v19, v38, v33
	v_sub_u32_e32 v19, v13, v33
	v_mov_b32_e32 v38, s59
	v_sub_co_u32_e32 v15, vcc, v15, v18
	v_xor_b32_e32 v14, s4, v14
	s_nop 0
	v_subb_co_u32_e64 v18, s[0:1], v19, v38, vcc
	v_subrev_co_u32_e64 v19, s[0:1], s58, v15
	v_subb_co_u32_e32 v13, vcc, v13, v33, vcc
	s_nop 0
	v_subbrev_co_u32_e64 v18, s[0:1], 0, v18, s[0:1]
	v_cmp_le_u32_e64 s[0:1], s59, v18
	v_cmp_le_u32_e32 vcc, s59, v13
	s_nop 0
	v_cndmask_b32_e64 v38, 0, -1, s[0:1]
	v_cmp_le_u32_e64 s[0:1], s58, v19
	v_cndmask_b32_e64 v33, 0, -1, vcc
	v_cmp_le_u32_e32 vcc, s58, v15
	v_cndmask_b32_e64 v19, 0, -1, s[0:1]
	v_cmp_eq_u32_e64 s[0:1], s59, v18
	v_cndmask_b32_e64 v15, 0, -1, vcc
	v_cmp_eq_u32_e32 vcc, s59, v13
	v_cndmask_b32_e64 v40, v38, v19, s[0:1]
	v_lshl_add_u64 v[18:19], v[16:17], 0, 2
	v_lshl_add_u64 v[38:39], v[16:17], 0, 1
	v_cmp_ne_u32_e64 s[0:1], 0, v40
	v_cndmask_b32_e32 v13, v33, v15, vcc
	v_cmp_ne_u32_e32 vcc, 0, v13
	v_cndmask_b32_e64 v15, v38, v18, s[0:1]
	v_cndmask_b32_e64 v19, v39, v19, s[0:1]
	v_cndmask_b32_e32 v15, v16, v15, vcc
	v_cndmask_b32_e32 v13, v17, v19, vcc
	v_xor_b32_e32 v15, v15, v14
	v_xor_b32_e32 v13, v13, v14
	v_sub_co_u32_e32 v38, vcc, v15, v14
	s_nop 1
	v_subb_co_u32_e32 v39, vcc, v13, v14, vcc
.LBB42_17:                              ;   in Loop: Header=BB42_11 Depth=1
	s_andn2_saveexec_b64 s[0:1], s[2:3]
	s_cbranch_execz .LBB42_19
; %bb.18:                               ;   in Loop: Header=BB42_11 Depth=1
	v_mul_f32_e32 v13, 0x4f7ffffe, v12
	v_cvt_u32_f32_e32 v13, v13
	s_sub_i32 s2, 0, s8
	v_mov_b32_e32 v39, v32
	v_mul_lo_u32 v14, s2, v13
	v_mul_hi_u32 v14, v13, v14
	v_add_u32_e32 v13, v13, v14
	v_mul_hi_u32 v13, v6, v13
	v_mul_lo_u32 v14, v13, s8
	v_sub_u32_e32 v14, v6, v14
	v_add_u32_e32 v15, 1, v13
	v_subrev_u32_e32 v16, s8, v14
	v_cmp_le_u32_e32 vcc, s8, v14
	s_nop 1
	v_cndmask_b32_e32 v14, v14, v16, vcc
	v_cndmask_b32_e32 v13, v13, v15, vcc
	v_add_u32_e32 v15, 1, v13
	v_cmp_le_u32_e32 vcc, s8, v14
	s_nop 1
	v_cndmask_b32_e32 v38, v13, v15, vcc
.LBB42_19:                              ;   in Loop: Header=BB42_11 Depth=1
	s_or_b64 exec, exec, s[0:1]
	v_or_b32_e32 v33, s9, v9
	v_cmp_ne_u64_e32 vcc, 0, v[32:33]
                                        ; implicit-def: $vgpr40_vgpr41
	s_and_saveexec_b64 s[0:1], vcc
	s_xor_b64 s[2:3], exec, s[0:1]
	s_cbranch_execz .LBB42_21
; %bb.20:                               ;   in Loop: Header=BB42_11 Depth=1
	s_ashr_i32 s4, s9, 31
	s_add_u32 s0, s8, s4
	s_mov_b32 s5, s4
	s_addc_u32 s1, s9, s4
	s_xor_b64 s[58:59], s[0:1], s[4:5]
	v_cvt_f32_u32_e32 v13, s58
	v_cvt_f32_u32_e32 v14, s59
	s_sub_u32 s5, 0, s58
	s_subb_u32 s60, 0, s59
	v_mov_b32_e32 v19, v32
	v_fmac_f32_e32 v13, 0x4f800000, v14
	v_rcp_f32_e32 v13, v13
	s_nop 0
	v_mul_f32_e32 v13, 0x5f7ffffc, v13
	v_mul_f32_e32 v14, 0x2f800000, v13
	v_trunc_f32_e32 v14, v14
	v_fmac_f32_e32 v13, 0xcf800000, v14
	v_cvt_u32_f32_e32 v14, v14
	v_cvt_u32_f32_e32 v13, v13
	v_readfirstlane_b32 s61, v14
	v_readfirstlane_b32 s0, v13
	s_mul_i32 s1, s5, s61
	s_mul_hi_u32 s68, s5, s0
	s_mul_i32 s67, s60, s0
	s_add_i32 s1, s68, s1
	s_add_i32 s1, s1, s67
	s_mul_i32 s69, s5, s0
	s_mul_i32 s68, s0, s1
	s_mul_hi_u32 s70, s0, s69
	s_mul_hi_u32 s67, s0, s1
	s_add_u32 s68, s70, s68
	s_addc_u32 s67, 0, s67
	s_mul_hi_u32 s71, s61, s69
	s_mul_i32 s69, s61, s69
	s_add_u32 s68, s68, s69
	s_mul_hi_u32 s70, s61, s1
	s_addc_u32 s67, s67, s71
	s_addc_u32 s68, s70, 0
	s_mul_i32 s1, s61, s1
	s_add_u32 s1, s67, s1
	s_addc_u32 s67, 0, s68
	s_add_u32 s68, s0, s1
	s_cselect_b64 s[0:1], -1, 0
	s_cmp_lg_u64 s[0:1], 0
	s_addc_u32 s61, s61, s67
	s_mul_i32 s0, s5, s61
	s_mul_hi_u32 s1, s5, s68
	s_add_i32 s0, s1, s0
	s_mul_i32 s60, s60, s68
	s_add_i32 s0, s0, s60
	s_mul_i32 s5, s5, s68
	s_mul_hi_u32 s60, s61, s5
	s_mul_i32 s67, s61, s5
	s_mul_i32 s70, s68, s0
	s_mul_hi_u32 s5, s68, s5
	s_mul_hi_u32 s69, s68, s0
	s_add_u32 s5, s5, s70
	s_addc_u32 s69, 0, s69
	s_add_u32 s5, s5, s67
	s_mul_hi_u32 s1, s61, s0
	s_addc_u32 s5, s69, s60
	s_addc_u32 s1, s1, 0
	s_mul_i32 s0, s61, s0
	s_add_u32 s0, s5, s0
	s_addc_u32 s5, 0, s1
	s_add_u32 s60, s68, s0
	v_ashrrev_i32_e32 v14, 31, v9
	s_cselect_b64 s[0:1], -1, 0
	v_mov_b32_e32 v15, v14
	s_cmp_lg_u64 s[0:1], 0
	v_lshl_add_u64 v[16:17], v[8:9], 0, v[14:15]
	s_addc_u32 s5, s61, s5
	v_xor_b32_e32 v15, v16, v14
	v_xor_b32_e32 v13, v17, v14
	v_mad_u64_u32 v[16:17], s[0:1], v15, s5, 0
	v_mul_hi_u32 v18, v15, s60
	v_lshl_add_u64 v[16:17], v[18:19], 0, v[16:17]
	v_mad_u64_u32 v[40:41], s[0:1], v13, s60, 0
	v_add_co_u32_e32 v16, vcc, v16, v40
	v_mad_u64_u32 v[18:19], s[0:1], v13, s5, 0
	s_nop 0
	v_addc_co_u32_e32 v16, vcc, v17, v41, vcc
	v_mov_b32_e32 v17, v32
	s_nop 0
	v_addc_co_u32_e32 v19, vcc, 0, v19, vcc
	v_lshl_add_u64 v[16:17], v[16:17], 0, v[18:19]
	v_mul_lo_u32 v33, s59, v16
	v_mul_lo_u32 v40, s58, v17
	v_mad_u64_u32 v[18:19], s[0:1], s58, v16, 0
	v_add3_u32 v33, v19, v40, v33
	v_sub_u32_e32 v19, v13, v33
	v_mov_b32_e32 v40, s59
	v_sub_co_u32_e32 v15, vcc, v15, v18
	v_xor_b32_e32 v14, s4, v14
	s_nop 0
	v_subb_co_u32_e64 v18, s[0:1], v19, v40, vcc
	v_subrev_co_u32_e64 v19, s[0:1], s58, v15
	v_subb_co_u32_e32 v13, vcc, v13, v33, vcc
	s_nop 0
	v_subbrev_co_u32_e64 v18, s[0:1], 0, v18, s[0:1]
	v_cmp_le_u32_e64 s[0:1], s59, v18
	v_cmp_le_u32_e32 vcc, s59, v13
	s_nop 0
	v_cndmask_b32_e64 v40, 0, -1, s[0:1]
	v_cmp_le_u32_e64 s[0:1], s58, v19
	v_cndmask_b32_e64 v33, 0, -1, vcc
	v_cmp_le_u32_e32 vcc, s58, v15
	v_cndmask_b32_e64 v19, 0, -1, s[0:1]
	v_cmp_eq_u32_e64 s[0:1], s59, v18
	v_cndmask_b32_e64 v15, 0, -1, vcc
	v_cmp_eq_u32_e32 vcc, s59, v13
	v_cndmask_b32_e64 v42, v40, v19, s[0:1]
	v_lshl_add_u64 v[18:19], v[16:17], 0, 2
	v_lshl_add_u64 v[40:41], v[16:17], 0, 1
	v_cmp_ne_u32_e64 s[0:1], 0, v42
	v_cndmask_b32_e32 v13, v33, v15, vcc
	v_cmp_ne_u32_e32 vcc, 0, v13
	v_cndmask_b32_e64 v15, v40, v18, s[0:1]
	v_cndmask_b32_e64 v19, v41, v19, s[0:1]
	v_cndmask_b32_e32 v15, v16, v15, vcc
	v_cndmask_b32_e32 v13, v17, v19, vcc
	v_xor_b32_e32 v15, v15, v14
	v_xor_b32_e32 v13, v13, v14
	v_sub_co_u32_e32 v40, vcc, v15, v14
	s_nop 1
	v_subb_co_u32_e32 v41, vcc, v13, v14, vcc
.LBB42_21:                              ;   in Loop: Header=BB42_11 Depth=1
	s_andn2_saveexec_b64 s[0:1], s[2:3]
	s_cbranch_execz .LBB42_23
; %bb.22:                               ;   in Loop: Header=BB42_11 Depth=1
	v_mul_f32_e32 v13, 0x4f7ffffe, v12
	v_cvt_u32_f32_e32 v13, v13
	s_sub_i32 s2, 0, s8
	v_mov_b32_e32 v41, v32
	v_mul_lo_u32 v14, s2, v13
	v_mul_hi_u32 v14, v13, v14
	v_add_u32_e32 v13, v13, v14
	v_mul_hi_u32 v13, v8, v13
	v_mul_lo_u32 v14, v13, s8
	v_sub_u32_e32 v14, v8, v14
	v_add_u32_e32 v15, 1, v13
	v_subrev_u32_e32 v16, s8, v14
	v_cmp_le_u32_e32 vcc, s8, v14
	s_nop 1
	v_cndmask_b32_e32 v14, v14, v16, vcc
	v_cndmask_b32_e32 v13, v13, v15, vcc
	v_add_u32_e32 v15, 1, v13
	v_cmp_le_u32_e32 vcc, s8, v14
	s_nop 1
	v_cndmask_b32_e32 v40, v13, v15, vcc
.LBB42_23:                              ;   in Loop: Header=BB42_11 Depth=1
	s_or_b64 exec, exec, s[0:1]
	v_or_b32_e32 v33, s9, v11
	v_cmp_ne_u64_e32 vcc, 0, v[32:33]
                                        ; implicit-def: $vgpr42_vgpr43
	s_and_saveexec_b64 s[0:1], vcc
	s_xor_b64 s[2:3], exec, s[0:1]
	s_cbranch_execz .LBB42_25
; %bb.24:                               ;   in Loop: Header=BB42_11 Depth=1
	s_ashr_i32 s4, s9, 31
	s_add_u32 s0, s8, s4
	s_mov_b32 s5, s4
	s_addc_u32 s1, s9, s4
	s_xor_b64 s[58:59], s[0:1], s[4:5]
	v_cvt_f32_u32_e32 v12, s58
	v_cvt_f32_u32_e32 v13, s59
	s_sub_u32 s5, 0, s58
	s_subb_u32 s60, 0, s59
	v_mov_b32_e32 v17, v32
	v_fmac_f32_e32 v12, 0x4f800000, v13
	v_rcp_f32_e32 v12, v12
	s_nop 0
	v_mul_f32_e32 v12, 0x5f7ffffc, v12
	v_mul_f32_e32 v13, 0x2f800000, v12
	v_trunc_f32_e32 v13, v13
	v_fmac_f32_e32 v12, 0xcf800000, v13
	v_cvt_u32_f32_e32 v13, v13
	v_cvt_u32_f32_e32 v12, v12
	v_readfirstlane_b32 s61, v13
	v_readfirstlane_b32 s0, v12
	s_mul_i32 s1, s5, s61
	s_mul_hi_u32 s68, s5, s0
	s_mul_i32 s67, s60, s0
	s_add_i32 s1, s68, s1
	s_add_i32 s1, s1, s67
	s_mul_i32 s69, s5, s0
	s_mul_i32 s68, s0, s1
	s_mul_hi_u32 s70, s0, s69
	s_mul_hi_u32 s67, s0, s1
	s_add_u32 s68, s70, s68
	s_addc_u32 s67, 0, s67
	s_mul_hi_u32 s71, s61, s69
	s_mul_i32 s69, s61, s69
	s_add_u32 s68, s68, s69
	s_mul_hi_u32 s70, s61, s1
	s_addc_u32 s67, s67, s71
	s_addc_u32 s68, s70, 0
	s_mul_i32 s1, s61, s1
	s_add_u32 s1, s67, s1
	s_addc_u32 s67, 0, s68
	s_add_u32 s68, s0, s1
	s_cselect_b64 s[0:1], -1, 0
	s_cmp_lg_u64 s[0:1], 0
	s_addc_u32 s61, s61, s67
	s_mul_i32 s0, s5, s61
	s_mul_hi_u32 s1, s5, s68
	s_add_i32 s0, s1, s0
	s_mul_i32 s60, s60, s68
	s_add_i32 s0, s0, s60
	s_mul_i32 s5, s5, s68
	s_mul_hi_u32 s60, s61, s5
	s_mul_i32 s67, s61, s5
	s_mul_i32 s70, s68, s0
	s_mul_hi_u32 s5, s68, s5
	s_mul_hi_u32 s69, s68, s0
	s_add_u32 s5, s5, s70
	s_addc_u32 s69, 0, s69
	s_add_u32 s5, s5, s67
	s_mul_hi_u32 s1, s61, s0
	s_addc_u32 s5, s69, s60
	s_addc_u32 s1, s1, 0
	s_mul_i32 s0, s61, s0
	s_add_u32 s0, s5, s0
	s_addc_u32 s5, 0, s1
	s_add_u32 s60, s68, s0
	v_ashrrev_i32_e32 v12, 31, v11
	s_cselect_b64 s[0:1], -1, 0
	v_mov_b32_e32 v13, v12
	s_cmp_lg_u64 s[0:1], 0
	v_lshl_add_u64 v[14:15], v[10:11], 0, v[12:13]
	s_addc_u32 s5, s61, s5
	v_xor_b32_e32 v33, v14, v12
	v_xor_b32_e32 v13, v15, v12
	v_mad_u64_u32 v[14:15], s[0:1], v33, s5, 0
	v_mul_hi_u32 v16, v33, s60
	v_lshl_add_u64 v[14:15], v[16:17], 0, v[14:15]
	v_mad_u64_u32 v[18:19], s[0:1], v13, s60, 0
	v_add_co_u32_e32 v14, vcc, v14, v18
	v_mad_u64_u32 v[16:17], s[0:1], v13, s5, 0
	s_nop 0
	v_addc_co_u32_e32 v14, vcc, v15, v19, vcc
	v_mov_b32_e32 v15, v32
	s_nop 0
	v_addc_co_u32_e32 v17, vcc, 0, v17, vcc
	v_lshl_add_u64 v[14:15], v[14:15], 0, v[16:17]
	v_mul_lo_u32 v18, s59, v14
	v_mul_lo_u32 v19, s58, v15
	v_mad_u64_u32 v[16:17], s[0:1], s58, v14, 0
	v_add3_u32 v42, v17, v19, v18
	v_sub_u32_e32 v17, v13, v42
	v_mov_b32_e32 v18, s59
	v_sub_co_u32_e32 v33, vcc, v33, v16
	v_xor_b32_e32 v12, s4, v12
	s_nop 0
	v_subb_co_u32_e64 v16, s[0:1], v17, v18, vcc
	v_subrev_co_u32_e64 v17, s[0:1], s58, v33
	v_subb_co_u32_e32 v13, vcc, v13, v42, vcc
	s_nop 0
	v_subbrev_co_u32_e64 v16, s[0:1], 0, v16, s[0:1]
	v_cmp_le_u32_e64 s[0:1], s59, v16
	v_cmp_le_u32_e32 vcc, s59, v13
	s_nop 0
	v_cndmask_b32_e64 v18, 0, -1, s[0:1]
	v_cmp_le_u32_e64 s[0:1], s58, v17
	s_nop 1
	v_cndmask_b32_e64 v17, 0, -1, s[0:1]
	v_cmp_eq_u32_e64 s[0:1], s59, v16
	s_nop 1
	v_cndmask_b32_e64 v43, v18, v17, s[0:1]
	v_lshl_add_u64 v[16:17], v[14:15], 0, 2
	v_lshl_add_u64 v[18:19], v[14:15], 0, 1
	v_cmp_ne_u32_e64 s[0:1], 0, v43
	s_nop 1
	v_cndmask_b32_e64 v17, v19, v17, s[0:1]
	v_cndmask_b32_e64 v19, 0, -1, vcc
	v_cmp_le_u32_e32 vcc, s58, v33
	s_nop 1
	v_cndmask_b32_e64 v33, 0, -1, vcc
	v_cmp_eq_u32_e32 vcc, s59, v13
	s_nop 1
	v_cndmask_b32_e32 v13, v19, v33, vcc
	v_cmp_ne_u32_e32 vcc, 0, v13
	s_nop 1
	v_cndmask_b32_e32 v13, v15, v17, vcc
	v_cndmask_b32_e64 v15, v18, v16, s[0:1]
	v_cndmask_b32_e32 v14, v14, v15, vcc
	v_xor_b32_e32 v14, v14, v12
	v_xor_b32_e32 v13, v13, v12
	v_sub_co_u32_e32 v42, vcc, v14, v12
	s_nop 1
	v_subb_co_u32_e32 v43, vcc, v13, v12, vcc
                                        ; implicit-def: $vgpr12
.LBB42_25:                              ;   in Loop: Header=BB42_11 Depth=1
	s_andn2_saveexec_b64 s[0:1], s[2:3]
	s_cbranch_execz .LBB42_27
; %bb.26:                               ;   in Loop: Header=BB42_11 Depth=1
	v_mul_f32_e32 v12, 0x4f7ffffe, v12
	v_cvt_u32_f32_e32 v12, v12
	s_sub_i32 s2, 0, s8
	v_mov_b32_e32 v43, v32
	v_mul_lo_u32 v13, s2, v12
	v_mul_hi_u32 v13, v12, v13
	v_add_u32_e32 v12, v12, v13
	v_mul_hi_u32 v12, v10, v12
	v_mul_lo_u32 v13, v12, s8
	v_sub_u32_e32 v13, v10, v13
	v_add_u32_e32 v14, 1, v12
	v_subrev_u32_e32 v15, s8, v13
	v_cmp_le_u32_e32 vcc, s8, v13
	s_nop 1
	v_cndmask_b32_e32 v13, v13, v15, vcc
	v_cndmask_b32_e32 v12, v12, v14, vcc
	v_add_u32_e32 v14, 1, v12
	v_cmp_le_u32_e32 vcc, s8, v13
	s_nop 1
	v_cndmask_b32_e32 v42, v12, v14, vcc
.LBB42_27:                              ;   in Loop: Header=BB42_11 Depth=1
	s_or_b64 exec, exec, s[0:1]
	v_cndmask_b32_e64 v12, 0, 1, s[28:29]
	v_cmp_ne_u32_e64 s[0:1], 1, v12
	s_andn2_b64 vcc, exec, s[28:29]
                                        ; implicit-def: $vgpr12_vgpr13_vgpr14_vgpr15_vgpr16_vgpr17_vgpr18_vgpr19
	s_cbranch_vccz .LBB42_31
; %bb.28:                               ;   in Loop: Header=BB42_11 Depth=1
	s_and_b64 vcc, exec, s[0:1]
	s_cbranch_vccz .LBB42_36
.LBB42_29:                              ;   in Loop: Header=BB42_11 Depth=1
	s_and_b64 vcc, exec, s[0:1]
	s_cbranch_vccz .LBB42_41
.LBB42_30:                              ;   in Loop: Header=BB42_11 Depth=1
	s_and_b64 vcc, exec, s[0:1]
	s_cbranch_vccnz .LBB42_10
	s_branch .LBB42_46
.LBB42_31:                              ;   in Loop: Header=BB42_11 Depth=1
	v_mad_u64_u32 v[14:15], s[2:3], s40, v36, v[24:25]
	v_mul_lo_u32 v12, s40, v37
	v_mul_lo_u32 v13, s41, v36
	v_add3_u32 v15, v13, v15, v12
	v_or_b32_e32 v33, s21, v15
	v_cmp_ne_u64_e32 vcc, 0, v[32:33]
                                        ; implicit-def: $vgpr12_vgpr13
	s_and_saveexec_b64 s[2:3], vcc
	s_xor_b64 s[58:59], exec, s[2:3]
	s_cbranch_execz .LBB42_33
; %bb.32:                               ;   in Loop: Header=BB42_11 Depth=1
	s_ashr_i32 s2, s21, 31
	s_add_u32 s4, s20, s2
	s_mov_b32 s3, s2
	s_addc_u32 s5, s21, s2
	s_xor_b64 s[60:61], s[4:5], s[2:3]
	v_cvt_f32_u32_e32 v12, s60
	v_cvt_f32_u32_e32 v13, s61
	s_sub_u32 s4, 0, s60
	s_subb_u32 s5, 0, s61
	v_ashrrev_i32_e32 v16, 31, v15
	v_fmac_f32_e32 v12, 0x4f800000, v13
	v_rcp_f32_e32 v12, v12
	v_mov_b32_e32 v17, v16
	v_mul_f32_e32 v12, 0x5f7ffffc, v12
	v_mul_f32_e32 v13, 0x2f800000, v12
	v_trunc_f32_e32 v13, v13
	v_fmac_f32_e32 v12, 0xcf800000, v13
	v_cvt_u32_f32_e32 v13, v13
	v_cvt_u32_f32_e32 v12, v12
	v_readfirstlane_b32 s67, v13
	v_readfirstlane_b32 s2, v12
	s_mul_i32 s3, s4, s67
	s_mul_hi_u32 s69, s4, s2
	s_mul_i32 s68, s5, s2
	s_add_i32 s3, s69, s3
	s_add_i32 s3, s3, s68
	s_mul_i32 s70, s4, s2
	s_mul_i32 s69, s2, s3
	s_mul_hi_u32 s71, s2, s70
	s_mul_hi_u32 s68, s2, s3
	s_add_u32 s69, s71, s69
	s_addc_u32 s68, 0, s68
	s_mul_hi_u32 s72, s67, s70
	s_mul_i32 s70, s67, s70
	s_add_u32 s69, s69, s70
	s_mul_hi_u32 s71, s67, s3
	s_addc_u32 s68, s68, s72
	s_addc_u32 s69, s71, 0
	s_mul_i32 s3, s67, s3
	s_add_u32 s3, s68, s3
	s_addc_u32 s68, 0, s69
	s_add_u32 s69, s2, s3
	s_cselect_b64 s[2:3], -1, 0
	s_cmp_lg_u64 s[2:3], 0
	s_addc_u32 s67, s67, s68
	s_mul_i32 s2, s4, s67
	s_mul_hi_u32 s3, s4, s69
	s_add_i32 s2, s3, s2
	s_mul_i32 s5, s5, s69
	s_add_i32 s2, s2, s5
	s_mul_i32 s4, s4, s69
	s_mul_hi_u32 s5, s67, s4
	s_mul_i32 s68, s67, s4
	s_mul_i32 s71, s69, s2
	s_mul_hi_u32 s4, s69, s4
	s_mul_hi_u32 s70, s69, s2
	s_add_u32 s4, s4, s71
	s_addc_u32 s70, 0, s70
	s_add_u32 s4, s4, s68
	s_mul_hi_u32 s3, s67, s2
	s_addc_u32 s4, s70, s5
	s_addc_u32 s3, s3, 0
	s_mul_i32 s2, s67, s2
	s_add_u32 s2, s4, s2
	s_addc_u32 s4, 0, s3
	s_add_u32 s5, s69, s2
	s_cselect_b64 s[2:3], -1, 0
	s_cmp_lg_u64 s[2:3], 0
	v_lshl_add_u64 v[12:13], v[14:15], 0, v[16:17]
	s_addc_u32 s4, s67, s4
	v_xor_b32_e32 v33, v12, v16
	v_xor_b32_e32 v17, v13, v16
	v_mad_u64_u32 v[12:13], s[2:3], v33, s4, 0
	v_mul_hi_u32 v14, v33, s5
	v_mov_b32_e32 v15, v32
	v_lshl_add_u64 v[12:13], v[14:15], 0, v[12:13]
	v_mad_u64_u32 v[18:19], s[2:3], v17, s5, 0
	v_add_co_u32_e32 v12, vcc, v12, v18
	v_mad_u64_u32 v[14:15], s[2:3], v17, s4, 0
	s_nop 0
	v_addc_co_u32_e32 v12, vcc, v13, v19, vcc
	v_mov_b32_e32 v13, v32
	s_nop 0
	v_addc_co_u32_e32 v15, vcc, 0, v15, vcc
	v_lshl_add_u64 v[12:13], v[12:13], 0, v[14:15]
	v_mul_lo_u32 v14, s61, v12
	v_mul_lo_u32 v15, s60, v13
	v_mad_u64_u32 v[12:13], s[2:3], s60, v12, 0
	v_add3_u32 v13, v13, v15, v14
	v_sub_u32_e32 v14, v17, v13
	v_mov_b32_e32 v15, s61
	v_sub_co_u32_e32 v12, vcc, v33, v12
	s_nop 1
	v_subb_co_u32_e64 v14, s[2:3], v14, v15, vcc
	v_subrev_co_u32_e64 v18, s[2:3], s60, v12
	v_subb_co_u32_e32 v13, vcc, v17, v13, vcc
	s_nop 0
	v_subbrev_co_u32_e64 v19, s[4:5], 0, v14, s[2:3]
	v_cmp_le_u32_e64 s[4:5], s61, v19
	v_subb_co_u32_e64 v14, s[2:3], v14, v15, s[2:3]
	s_nop 0
	v_cndmask_b32_e64 v33, 0, -1, s[4:5]
	v_cmp_le_u32_e64 s[4:5], s60, v18
	v_subrev_co_u32_e64 v15, s[2:3], s60, v18
	s_nop 0
	v_cndmask_b32_e64 v44, 0, -1, s[4:5]
	v_cmp_eq_u32_e64 s[4:5], s61, v19
	v_subbrev_co_u32_e64 v14, s[2:3], 0, v14, s[2:3]
	s_nop 0
	v_cndmask_b32_e64 v33, v33, v44, s[4:5]
	v_cmp_le_u32_e32 vcc, s61, v13
	v_cmp_ne_u32_e64 s[2:3], 0, v33
	s_nop 0
	v_cndmask_b32_e64 v17, 0, -1, vcc
	v_cmp_le_u32_e32 vcc, s60, v12
	v_cndmask_b32_e64 v14, v19, v14, s[2:3]
	s_nop 0
	v_cndmask_b32_e64 v19, 0, -1, vcc
	v_cmp_eq_u32_e32 vcc, s61, v13
	s_nop 1
	v_cndmask_b32_e32 v17, v17, v19, vcc
	v_cmp_ne_u32_e32 vcc, 0, v17
	s_nop 1
	v_cndmask_b32_e32 v13, v13, v14, vcc
	v_cndmask_b32_e64 v14, v18, v15, s[2:3]
	v_cndmask_b32_e32 v12, v12, v14, vcc
	v_xor_b32_e32 v12, v12, v16
	v_xor_b32_e32 v13, v13, v16
	v_sub_co_u32_e32 v12, vcc, v12, v16
                                        ; implicit-def: $vgpr14_vgpr15
	s_nop 1
	v_subb_co_u32_e32 v13, vcc, v13, v16, vcc
.LBB42_33:                              ;   in Loop: Header=BB42_11 Depth=1
	s_andn2_saveexec_b64 s[2:3], s[58:59]
	s_cbranch_execz .LBB42_35
; %bb.34:                               ;   in Loop: Header=BB42_11 Depth=1
	v_cvt_f32_u32_e32 v12, s20
	s_sub_i32 s4, 0, s20
	v_rcp_iflag_f32_e32 v12, v12
	s_nop 0
	v_mul_f32_e32 v12, 0x4f7ffffe, v12
	v_cvt_u32_f32_e32 v12, v12
	v_mul_lo_u32 v13, s4, v12
	v_mul_hi_u32 v13, v12, v13
	v_add_u32_e32 v12, v12, v13
	v_mul_hi_u32 v12, v14, v12
	v_mul_lo_u32 v12, v12, s20
	v_sub_u32_e32 v12, v14, v12
	v_subrev_u32_e32 v13, s20, v12
	v_cmp_le_u32_e32 vcc, s20, v12
	s_nop 1
	v_cndmask_b32_e32 v12, v12, v13, vcc
	v_subrev_u32_e32 v13, s20, v12
	v_cmp_le_u32_e32 vcc, s20, v12
	s_nop 1
	v_cndmask_b32_e32 v12, v12, v13, vcc
	v_mov_b32_e32 v13, v32
.LBB42_35:                              ;   in Loop: Header=BB42_11 Depth=1
	s_or_b64 exec, exec, s[2:3]
	s_and_b64 vcc, exec, s[0:1]
	s_cbranch_vccnz .LBB42_29
.LBB42_36:                              ;   in Loop: Header=BB42_11 Depth=1
	v_mad_u64_u32 v[44:45], s[2:3], s40, v38, v[30:31]
	v_mul_lo_u32 v14, s40, v39
	v_mul_lo_u32 v15, s41, v38
	v_add3_u32 v45, v15, v45, v14
	v_or_b32_e32 v33, s21, v45
	v_cmp_ne_u64_e32 vcc, 0, v[32:33]
	s_and_saveexec_b64 s[2:3], vcc
	s_xor_b64 s[58:59], exec, s[2:3]
	s_cbranch_execz .LBB42_38
; %bb.37:                               ;   in Loop: Header=BB42_11 Depth=1
	s_ashr_i32 s2, s21, 31
	s_add_u32 s4, s20, s2
	s_mov_b32 s3, s2
	s_addc_u32 s5, s21, s2
	s_xor_b64 s[60:61], s[4:5], s[2:3]
	v_cvt_f32_u32_e32 v14, s60
	v_cvt_f32_u32_e32 v15, s61
	s_sub_u32 s4, 0, s60
	s_subb_u32 s5, 0, s61
	v_ashrrev_i32_e32 v46, 31, v45
	v_fmac_f32_e32 v14, 0x4f800000, v15
	v_rcp_f32_e32 v14, v14
	v_mov_b32_e32 v47, v46
	v_mul_f32_e32 v14, 0x5f7ffffc, v14
	v_mul_f32_e32 v15, 0x2f800000, v14
	v_trunc_f32_e32 v15, v15
	v_fmac_f32_e32 v14, 0xcf800000, v15
	v_cvt_u32_f32_e32 v15, v15
	v_cvt_u32_f32_e32 v14, v14
	v_readfirstlane_b32 s67, v15
	v_readfirstlane_b32 s2, v14
	s_mul_i32 s3, s4, s67
	s_mul_hi_u32 s69, s4, s2
	s_mul_i32 s68, s5, s2
	s_add_i32 s3, s69, s3
	s_add_i32 s3, s3, s68
	s_mul_i32 s70, s4, s2
	s_mul_i32 s69, s2, s3
	s_mul_hi_u32 s71, s2, s70
	s_mul_hi_u32 s68, s2, s3
	s_add_u32 s69, s71, s69
	s_addc_u32 s68, 0, s68
	s_mul_hi_u32 s72, s67, s70
	s_mul_i32 s70, s67, s70
	s_add_u32 s69, s69, s70
	s_mul_hi_u32 s71, s67, s3
	s_addc_u32 s68, s68, s72
	s_addc_u32 s69, s71, 0
	s_mul_i32 s3, s67, s3
	s_add_u32 s3, s68, s3
	s_addc_u32 s68, 0, s69
	s_add_u32 s69, s2, s3
	s_cselect_b64 s[2:3], -1, 0
	s_cmp_lg_u64 s[2:3], 0
	s_addc_u32 s67, s67, s68
	s_mul_i32 s2, s4, s67
	s_mul_hi_u32 s3, s4, s69
	s_add_i32 s2, s3, s2
	s_mul_i32 s5, s5, s69
	s_add_i32 s2, s2, s5
	s_mul_i32 s4, s4, s69
	s_mul_hi_u32 s5, s67, s4
	s_mul_i32 s68, s67, s4
	s_mul_i32 s71, s69, s2
	s_mul_hi_u32 s4, s69, s4
	s_mul_hi_u32 s70, s69, s2
	s_add_u32 s4, s4, s71
	s_addc_u32 s70, 0, s70
	s_add_u32 s4, s4, s68
	s_mul_hi_u32 s3, s67, s2
	s_addc_u32 s4, s70, s5
	s_addc_u32 s3, s3, 0
	s_mul_i32 s2, s67, s2
	s_add_u32 s2, s4, s2
	s_addc_u32 s4, 0, s3
	s_add_u32 s5, s69, s2
	s_cselect_b64 s[2:3], -1, 0
	s_cmp_lg_u64 s[2:3], 0
	v_lshl_add_u64 v[14:15], v[44:45], 0, v[46:47]
	s_addc_u32 s4, s67, s4
	v_xor_b32_e32 v47, v14, v46
	v_xor_b32_e32 v33, v15, v46
	v_mad_u64_u32 v[14:15], s[2:3], v47, s4, 0
	v_mul_hi_u32 v44, v47, s5
	v_mov_b32_e32 v45, v32
	v_lshl_add_u64 v[14:15], v[44:45], 0, v[14:15]
	v_mad_u64_u32 v[48:49], s[2:3], v33, s5, 0
	v_add_co_u32_e32 v14, vcc, v14, v48
	v_mad_u64_u32 v[44:45], s[2:3], v33, s4, 0
	s_nop 0
	v_addc_co_u32_e32 v14, vcc, v15, v49, vcc
	v_mov_b32_e32 v15, v32
	s_nop 0
	v_addc_co_u32_e32 v45, vcc, 0, v45, vcc
	v_lshl_add_u64 v[14:15], v[14:15], 0, v[44:45]
	v_mul_lo_u32 v44, s61, v14
	v_mul_lo_u32 v45, s60, v15
	v_mad_u64_u32 v[14:15], s[2:3], s60, v14, 0
	v_add3_u32 v15, v15, v45, v44
	v_sub_u32_e32 v44, v33, v15
	v_mov_b32_e32 v45, s61
	v_sub_co_u32_e32 v14, vcc, v47, v14
	s_nop 1
	v_subb_co_u32_e64 v44, s[2:3], v44, v45, vcc
	v_subrev_co_u32_e64 v47, s[2:3], s60, v14
	v_subb_co_u32_e32 v15, vcc, v33, v15, vcc
	s_nop 0
	v_subbrev_co_u32_e64 v48, s[4:5], 0, v44, s[2:3]
	v_cmp_le_u32_e64 s[4:5], s61, v48
	v_subb_co_u32_e64 v44, s[2:3], v44, v45, s[2:3]
	s_nop 0
	v_cndmask_b32_e64 v49, 0, -1, s[4:5]
	v_cmp_le_u32_e64 s[4:5], s60, v47
	v_subrev_co_u32_e64 v45, s[2:3], s60, v47
	s_nop 0
	v_cndmask_b32_e64 v50, 0, -1, s[4:5]
	v_cmp_eq_u32_e64 s[4:5], s61, v48
	v_subbrev_co_u32_e64 v44, s[2:3], 0, v44, s[2:3]
	s_nop 0
	v_cndmask_b32_e64 v49, v49, v50, s[4:5]
	v_cmp_le_u32_e32 vcc, s61, v15
	v_cmp_ne_u32_e64 s[2:3], 0, v49
	s_nop 0
	v_cndmask_b32_e64 v33, 0, -1, vcc
	v_cmp_le_u32_e32 vcc, s60, v14
	v_cndmask_b32_e64 v44, v48, v44, s[2:3]
	s_nop 0
	v_cndmask_b32_e64 v48, 0, -1, vcc
	v_cmp_eq_u32_e32 vcc, s61, v15
	s_nop 1
	v_cndmask_b32_e32 v33, v33, v48, vcc
	v_cmp_ne_u32_e32 vcc, 0, v33
	v_cndmask_b32_e64 v33, v47, v45, s[2:3]
	s_nop 0
	v_cndmask_b32_e32 v14, v14, v33, vcc
	v_cndmask_b32_e32 v15, v15, v44, vcc
	v_xor_b32_e32 v14, v14, v46
	v_xor_b32_e32 v15, v15, v46
	v_sub_co_u32_e32 v14, vcc, v14, v46
                                        ; implicit-def: $vgpr44_vgpr45
	s_nop 1
	v_subb_co_u32_e32 v15, vcc, v15, v46, vcc
.LBB42_38:                              ;   in Loop: Header=BB42_11 Depth=1
	s_andn2_saveexec_b64 s[2:3], s[58:59]
	s_cbranch_execz .LBB42_40
; %bb.39:                               ;   in Loop: Header=BB42_11 Depth=1
	v_cvt_f32_u32_e32 v14, s20
	s_sub_i32 s4, 0, s20
	v_rcp_iflag_f32_e32 v14, v14
	s_nop 0
	v_mul_f32_e32 v14, 0x4f7ffffe, v14
	v_cvt_u32_f32_e32 v14, v14
	v_mul_lo_u32 v15, s4, v14
	v_mul_hi_u32 v15, v14, v15
	v_add_u32_e32 v14, v14, v15
	v_mul_hi_u32 v14, v44, v14
	v_mul_lo_u32 v14, v14, s20
	v_sub_u32_e32 v14, v44, v14
	v_subrev_u32_e32 v15, s20, v14
	v_cmp_le_u32_e32 vcc, s20, v14
	s_nop 1
	v_cndmask_b32_e32 v14, v14, v15, vcc
	v_subrev_u32_e32 v15, s20, v14
	v_cmp_le_u32_e32 vcc, s20, v14
	s_nop 1
	v_cndmask_b32_e32 v14, v14, v15, vcc
	v_mov_b32_e32 v15, v32
.LBB42_40:                              ;   in Loop: Header=BB42_11 Depth=1
	s_or_b64 exec, exec, s[2:3]
	s_and_b64 vcc, exec, s[0:1]
	s_cbranch_vccnz .LBB42_30
.LBB42_41:                              ;   in Loop: Header=BB42_11 Depth=1
	v_mad_u64_u32 v[44:45], s[2:3], s40, v40, v[28:29]
	v_mul_lo_u32 v16, s40, v41
	v_mul_lo_u32 v17, s41, v40
	v_add3_u32 v45, v17, v45, v16
	v_or_b32_e32 v33, s21, v45
	v_cmp_ne_u64_e32 vcc, 0, v[32:33]
	s_and_saveexec_b64 s[2:3], vcc
	s_xor_b64 s[58:59], exec, s[2:3]
	s_cbranch_execz .LBB42_43
; %bb.42:                               ;   in Loop: Header=BB42_11 Depth=1
	s_ashr_i32 s2, s21, 31
	s_add_u32 s4, s20, s2
	s_mov_b32 s3, s2
	s_addc_u32 s5, s21, s2
	s_xor_b64 s[60:61], s[4:5], s[2:3]
	v_cvt_f32_u32_e32 v16, s60
	v_cvt_f32_u32_e32 v17, s61
	s_sub_u32 s4, 0, s60
	s_subb_u32 s5, 0, s61
	v_ashrrev_i32_e32 v46, 31, v45
	v_fmac_f32_e32 v16, 0x4f800000, v17
	v_rcp_f32_e32 v16, v16
	v_mov_b32_e32 v47, v46
	v_mul_f32_e32 v16, 0x5f7ffffc, v16
	v_mul_f32_e32 v17, 0x2f800000, v16
	v_trunc_f32_e32 v17, v17
	v_fmac_f32_e32 v16, 0xcf800000, v17
	v_cvt_u32_f32_e32 v17, v17
	v_cvt_u32_f32_e32 v16, v16
	v_readfirstlane_b32 s67, v17
	v_readfirstlane_b32 s2, v16
	s_mul_i32 s3, s4, s67
	s_mul_hi_u32 s69, s4, s2
	s_mul_i32 s68, s5, s2
	s_add_i32 s3, s69, s3
	s_add_i32 s3, s3, s68
	s_mul_i32 s70, s4, s2
	s_mul_i32 s69, s2, s3
	s_mul_hi_u32 s71, s2, s70
	s_mul_hi_u32 s68, s2, s3
	s_add_u32 s69, s71, s69
	s_addc_u32 s68, 0, s68
	s_mul_hi_u32 s72, s67, s70
	s_mul_i32 s70, s67, s70
	s_add_u32 s69, s69, s70
	s_mul_hi_u32 s71, s67, s3
	s_addc_u32 s68, s68, s72
	s_addc_u32 s69, s71, 0
	s_mul_i32 s3, s67, s3
	s_add_u32 s3, s68, s3
	s_addc_u32 s68, 0, s69
	s_add_u32 s69, s2, s3
	s_cselect_b64 s[2:3], -1, 0
	s_cmp_lg_u64 s[2:3], 0
	s_addc_u32 s67, s67, s68
	s_mul_i32 s2, s4, s67
	s_mul_hi_u32 s3, s4, s69
	s_add_i32 s2, s3, s2
	s_mul_i32 s5, s5, s69
	s_add_i32 s2, s2, s5
	s_mul_i32 s4, s4, s69
	s_mul_hi_u32 s5, s67, s4
	s_mul_i32 s68, s67, s4
	s_mul_i32 s71, s69, s2
	s_mul_hi_u32 s4, s69, s4
	s_mul_hi_u32 s70, s69, s2
	s_add_u32 s4, s4, s71
	s_addc_u32 s70, 0, s70
	s_add_u32 s4, s4, s68
	s_mul_hi_u32 s3, s67, s2
	s_addc_u32 s4, s70, s5
	s_addc_u32 s3, s3, 0
	s_mul_i32 s2, s67, s2
	s_add_u32 s2, s4, s2
	s_addc_u32 s4, 0, s3
	s_add_u32 s5, s69, s2
	s_cselect_b64 s[2:3], -1, 0
	s_cmp_lg_u64 s[2:3], 0
	v_lshl_add_u64 v[16:17], v[44:45], 0, v[46:47]
	s_addc_u32 s4, s67, s4
	v_xor_b32_e32 v47, v16, v46
	v_xor_b32_e32 v33, v17, v46
	v_mad_u64_u32 v[16:17], s[2:3], v47, s4, 0
	v_mul_hi_u32 v44, v47, s5
	v_mov_b32_e32 v45, v32
	v_lshl_add_u64 v[16:17], v[44:45], 0, v[16:17]
	v_mad_u64_u32 v[48:49], s[2:3], v33, s5, 0
	v_add_co_u32_e32 v16, vcc, v16, v48
	v_mad_u64_u32 v[44:45], s[2:3], v33, s4, 0
	s_nop 0
	v_addc_co_u32_e32 v16, vcc, v17, v49, vcc
	v_mov_b32_e32 v17, v32
	s_nop 0
	v_addc_co_u32_e32 v45, vcc, 0, v45, vcc
	v_lshl_add_u64 v[16:17], v[16:17], 0, v[44:45]
	v_mul_lo_u32 v44, s61, v16
	v_mul_lo_u32 v45, s60, v17
	v_mad_u64_u32 v[16:17], s[2:3], s60, v16, 0
	v_add3_u32 v17, v17, v45, v44
	v_sub_u32_e32 v44, v33, v17
	v_mov_b32_e32 v45, s61
	v_sub_co_u32_e32 v16, vcc, v47, v16
	s_nop 1
	v_subb_co_u32_e64 v44, s[2:3], v44, v45, vcc
	v_subrev_co_u32_e64 v47, s[2:3], s60, v16
	v_subb_co_u32_e32 v17, vcc, v33, v17, vcc
	s_nop 0
	v_subbrev_co_u32_e64 v48, s[4:5], 0, v44, s[2:3]
	v_cmp_le_u32_e64 s[4:5], s61, v48
	v_subb_co_u32_e64 v44, s[2:3], v44, v45, s[2:3]
	s_nop 0
	v_cndmask_b32_e64 v49, 0, -1, s[4:5]
	v_cmp_le_u32_e64 s[4:5], s60, v47
	v_subrev_co_u32_e64 v45, s[2:3], s60, v47
	s_nop 0
	v_cndmask_b32_e64 v50, 0, -1, s[4:5]
	v_cmp_eq_u32_e64 s[4:5], s61, v48
	v_subbrev_co_u32_e64 v44, s[2:3], 0, v44, s[2:3]
	s_nop 0
	v_cndmask_b32_e64 v49, v49, v50, s[4:5]
	v_cmp_le_u32_e32 vcc, s61, v17
	v_cmp_ne_u32_e64 s[2:3], 0, v49
	s_nop 0
	v_cndmask_b32_e64 v33, 0, -1, vcc
	v_cmp_le_u32_e32 vcc, s60, v16
	v_cndmask_b32_e64 v44, v48, v44, s[2:3]
	s_nop 0
	v_cndmask_b32_e64 v48, 0, -1, vcc
	v_cmp_eq_u32_e32 vcc, s61, v17
	s_nop 1
	v_cndmask_b32_e32 v33, v33, v48, vcc
	v_cmp_ne_u32_e32 vcc, 0, v33
	v_cndmask_b32_e64 v33, v47, v45, s[2:3]
	s_nop 0
	v_cndmask_b32_e32 v16, v16, v33, vcc
	v_cndmask_b32_e32 v17, v17, v44, vcc
	v_xor_b32_e32 v16, v16, v46
	v_xor_b32_e32 v17, v17, v46
	v_sub_co_u32_e32 v16, vcc, v16, v46
                                        ; implicit-def: $vgpr44_vgpr45
	s_nop 1
	v_subb_co_u32_e32 v17, vcc, v17, v46, vcc
.LBB42_43:                              ;   in Loop: Header=BB42_11 Depth=1
	s_andn2_saveexec_b64 s[2:3], s[58:59]
	s_cbranch_execz .LBB42_45
; %bb.44:                               ;   in Loop: Header=BB42_11 Depth=1
	v_cvt_f32_u32_e32 v16, s20
	s_sub_i32 s4, 0, s20
	v_rcp_iflag_f32_e32 v16, v16
	s_nop 0
	v_mul_f32_e32 v16, 0x4f7ffffe, v16
	v_cvt_u32_f32_e32 v16, v16
	v_mul_lo_u32 v17, s4, v16
	v_mul_hi_u32 v17, v16, v17
	v_add_u32_e32 v16, v16, v17
	v_mul_hi_u32 v16, v44, v16
	v_mul_lo_u32 v16, v16, s20
	v_sub_u32_e32 v16, v44, v16
	v_subrev_u32_e32 v17, s20, v16
	v_cmp_le_u32_e32 vcc, s20, v16
	s_nop 1
	v_cndmask_b32_e32 v16, v16, v17, vcc
	v_subrev_u32_e32 v17, s20, v16
	v_cmp_le_u32_e32 vcc, s20, v16
	s_nop 1
	v_cndmask_b32_e32 v16, v16, v17, vcc
	v_mov_b32_e32 v17, v32
.LBB42_45:                              ;   in Loop: Header=BB42_11 Depth=1
	s_or_b64 exec, exec, s[2:3]
	s_and_b64 vcc, exec, s[0:1]
	s_cbranch_vccnz .LBB42_10
.LBB42_46:                              ;   in Loop: Header=BB42_11 Depth=1
	v_mad_u64_u32 v[44:45], s[0:1], s40, v42, v[0:1]
	v_mul_lo_u32 v18, s40, v43
	v_mul_lo_u32 v19, s41, v42
	v_add3_u32 v45, v19, v45, v18
	v_or_b32_e32 v33, s21, v45
	v_cmp_ne_u64_e32 vcc, 0, v[32:33]
	s_and_saveexec_b64 s[0:1], vcc
	s_xor_b64 s[4:5], exec, s[0:1]
	s_cbranch_execz .LBB42_48
; %bb.47:                               ;   in Loop: Header=BB42_11 Depth=1
	s_ashr_i32 s0, s21, 31
	s_add_u32 s2, s20, s0
	s_mov_b32 s1, s0
	s_addc_u32 s3, s21, s0
	s_xor_b64 s[58:59], s[2:3], s[0:1]
	v_cvt_f32_u32_e32 v18, s58
	v_cvt_f32_u32_e32 v19, s59
	s_sub_u32 s2, 0, s58
	s_subb_u32 s3, 0, s59
	v_ashrrev_i32_e32 v46, 31, v45
	v_fmac_f32_e32 v18, 0x4f800000, v19
	v_rcp_f32_e32 v18, v18
	v_mov_b32_e32 v47, v46
	v_mul_f32_e32 v18, 0x5f7ffffc, v18
	v_mul_f32_e32 v19, 0x2f800000, v18
	v_trunc_f32_e32 v19, v19
	v_fmac_f32_e32 v18, 0xcf800000, v19
	v_cvt_u32_f32_e32 v19, v19
	v_cvt_u32_f32_e32 v18, v18
	v_readfirstlane_b32 s60, v19
	v_readfirstlane_b32 s0, v18
	s_mul_i32 s1, s2, s60
	s_mul_hi_u32 s67, s2, s0
	s_mul_i32 s61, s3, s0
	s_add_i32 s1, s67, s1
	s_add_i32 s1, s1, s61
	s_mul_i32 s68, s2, s0
	s_mul_i32 s67, s0, s1
	s_mul_hi_u32 s69, s0, s68
	s_mul_hi_u32 s61, s0, s1
	s_add_u32 s67, s69, s67
	s_addc_u32 s61, 0, s61
	s_mul_hi_u32 s70, s60, s68
	s_mul_i32 s68, s60, s68
	s_add_u32 s67, s67, s68
	s_mul_hi_u32 s69, s60, s1
	s_addc_u32 s61, s61, s70
	s_addc_u32 s67, s69, 0
	s_mul_i32 s1, s60, s1
	s_add_u32 s1, s61, s1
	s_addc_u32 s61, 0, s67
	s_add_u32 s67, s0, s1
	s_cselect_b64 s[0:1], -1, 0
	s_cmp_lg_u64 s[0:1], 0
	s_addc_u32 s60, s60, s61
	s_mul_i32 s0, s2, s60
	s_mul_hi_u32 s1, s2, s67
	s_add_i32 s0, s1, s0
	s_mul_i32 s3, s3, s67
	s_add_i32 s0, s0, s3
	s_mul_i32 s2, s2, s67
	s_mul_hi_u32 s3, s60, s2
	s_mul_i32 s61, s60, s2
	s_mul_i32 s69, s67, s0
	s_mul_hi_u32 s2, s67, s2
	s_mul_hi_u32 s68, s67, s0
	s_add_u32 s2, s2, s69
	s_addc_u32 s68, 0, s68
	s_add_u32 s2, s2, s61
	s_mul_hi_u32 s1, s60, s0
	s_addc_u32 s2, s68, s3
	s_addc_u32 s1, s1, 0
	s_mul_i32 s0, s60, s0
	s_add_u32 s0, s2, s0
	s_addc_u32 s2, 0, s1
	s_add_u32 s3, s67, s0
	s_cselect_b64 s[0:1], -1, 0
	s_cmp_lg_u64 s[0:1], 0
	v_lshl_add_u64 v[18:19], v[44:45], 0, v[46:47]
	s_addc_u32 s2, s60, s2
	v_xor_b32_e32 v47, v18, v46
	v_xor_b32_e32 v33, v19, v46
	v_mad_u64_u32 v[18:19], s[0:1], v47, s2, 0
	v_mul_hi_u32 v44, v47, s3
	v_mov_b32_e32 v45, v32
	v_lshl_add_u64 v[18:19], v[44:45], 0, v[18:19]
	v_mad_u64_u32 v[48:49], s[0:1], v33, s3, 0
	v_add_co_u32_e32 v18, vcc, v18, v48
	v_mad_u64_u32 v[44:45], s[0:1], v33, s2, 0
	s_nop 0
	v_addc_co_u32_e32 v18, vcc, v19, v49, vcc
	v_mov_b32_e32 v19, v32
	s_nop 0
	v_addc_co_u32_e32 v45, vcc, 0, v45, vcc
	v_lshl_add_u64 v[18:19], v[18:19], 0, v[44:45]
	v_mul_lo_u32 v44, s59, v18
	v_mul_lo_u32 v45, s58, v19
	v_mad_u64_u32 v[18:19], s[0:1], s58, v18, 0
	v_add3_u32 v19, v19, v45, v44
	v_sub_u32_e32 v44, v33, v19
	v_mov_b32_e32 v45, s59
	v_sub_co_u32_e32 v18, vcc, v47, v18
	s_nop 1
	v_subb_co_u32_e64 v44, s[0:1], v44, v45, vcc
	v_subrev_co_u32_e64 v47, s[0:1], s58, v18
	v_subb_co_u32_e32 v19, vcc, v33, v19, vcc
	s_nop 0
	v_subbrev_co_u32_e64 v48, s[2:3], 0, v44, s[0:1]
	v_cmp_le_u32_e64 s[2:3], s59, v48
	v_subb_co_u32_e64 v44, s[0:1], v44, v45, s[0:1]
	s_nop 0
	v_cndmask_b32_e64 v49, 0, -1, s[2:3]
	v_cmp_le_u32_e64 s[2:3], s58, v47
	v_subrev_co_u32_e64 v45, s[0:1], s58, v47
	s_nop 0
	v_cndmask_b32_e64 v50, 0, -1, s[2:3]
	v_cmp_eq_u32_e64 s[2:3], s59, v48
	v_subbrev_co_u32_e64 v44, s[0:1], 0, v44, s[0:1]
	s_nop 0
	v_cndmask_b32_e64 v49, v49, v50, s[2:3]
	v_cmp_le_u32_e32 vcc, s59, v19
	v_cmp_ne_u32_e64 s[0:1], 0, v49
	s_nop 0
	v_cndmask_b32_e64 v33, 0, -1, vcc
	v_cmp_le_u32_e32 vcc, s58, v18
	v_cndmask_b32_e64 v44, v48, v44, s[0:1]
	s_nop 0
	v_cndmask_b32_e64 v48, 0, -1, vcc
	v_cmp_eq_u32_e32 vcc, s59, v19
	s_nop 1
	v_cndmask_b32_e32 v33, v33, v48, vcc
	v_cmp_ne_u32_e32 vcc, 0, v33
	v_cndmask_b32_e64 v33, v47, v45, s[0:1]
	s_nop 0
	v_cndmask_b32_e32 v18, v18, v33, vcc
	v_cndmask_b32_e32 v19, v19, v44, vcc
	v_xor_b32_e32 v18, v18, v46
	v_xor_b32_e32 v19, v19, v46
	v_sub_co_u32_e32 v18, vcc, v18, v46
                                        ; implicit-def: $vgpr44_vgpr45
	s_nop 1
	v_subb_co_u32_e32 v19, vcc, v19, v46, vcc
.LBB42_48:                              ;   in Loop: Header=BB42_11 Depth=1
	s_andn2_saveexec_b64 s[0:1], s[4:5]
	s_cbranch_execz .LBB42_9
; %bb.49:                               ;   in Loop: Header=BB42_11 Depth=1
	v_cvt_f32_u32_e32 v18, s20
	s_sub_i32 s2, 0, s20
	v_rcp_iflag_f32_e32 v18, v18
	s_nop 0
	v_mul_f32_e32 v18, 0x4f7ffffe, v18
	v_cvt_u32_f32_e32 v18, v18
	v_mul_lo_u32 v19, s2, v18
	v_mul_hi_u32 v19, v18, v19
	v_add_u32_e32 v18, v18, v19
	v_mul_hi_u32 v18, v44, v18
	v_mul_lo_u32 v18, v18, s20
	v_sub_u32_e32 v18, v44, v18
	v_subrev_u32_e32 v19, s20, v18
	v_cmp_le_u32_e32 vcc, s20, v18
	s_nop 1
	v_cndmask_b32_e32 v18, v18, v19, vcc
	v_subrev_u32_e32 v19, s20, v18
	v_cmp_le_u32_e32 vcc, s20, v18
	s_nop 1
	v_cndmask_b32_e32 v18, v18, v19, vcc
	v_mov_b32_e32 v19, v32
	s_branch .LBB42_9
.LBB42_50:
	s_or_b64 exec, exec, s[50:51]
	v_mad_u64_u32 v[2:3], s[0:1], v22, s10, v[2:3]
	v_mul_lo_u32 v0, v22, s11
	v_mul_lo_u32 v1, v23, s10
	v_cmp_ne_u64_e32 vcc, v[20:21], v[22:23]
	v_add3_u32 v3, v1, v3, v0
	v_mov_b64_e32 v[6:7], s[52:53]
	v_mov_b64_e32 v[4:5], s[40:41]
	s_and_b64 s[0:1], vcc, exec
	s_andn2_saveexec_b64 s[2:3], s[24:25]
	s_cbranch_execz .LBB42_7
.LBB42_51:
	s_sub_u32 s4, 0, s8
	s_subb_u32 s5, 0, s9
	s_lshl_b64 s[24:25], s[10:11], 1
	v_mov_b64_e32 v[4:5], s[4:5]
	v_mov_b64_e32 v[6:7], s[24:25]
	s_or_b64 s[0:1], s[0:1], exec
	s_or_b64 exec, exec, s[2:3]
	s_and_b64 exec, exec, s[0:1]
	s_cbranch_execz .LBB42_64
.LBB42_52:
	v_cvt_f32_u32_e32 v8, s8
	s_sub_u32 s18, 0, s18
	v_cndmask_b32_e64 v10, 0, 1, s[22:23]
	s_subb_u32 s19, 0, s19
	v_rcp_iflag_f32_e32 v9, v8
	s_sub_i32 s2, 0, s8
	v_cmp_ne_u32_e64 s[0:1], 1, v10
	s_mov_b64 s[24:25], 0
	v_mul_f32_e32 v9, 0x4f7ffffe, v9
	v_cvt_u32_f32_e32 v9, v9
	v_lshl_add_u64 v[0:1], v[2:3], 1, s[14:15]
	v_mov_b32_e32 v8, 0
	s_ashr_i32 s14, s9, 31
	v_mul_lo_u32 v10, s2, v9
	v_mul_hi_u32 v10, v9, v10
	v_add_u32_e32 v16, v9, v10
	s_ashr_i32 s22, s21, 31
	s_branch .LBB42_55
.LBB42_53:                              ;   in Loop: Header=BB42_55 Depth=1
	s_or_b64 exec, exec, s[2:3]
	v_ashrrev_i32_e32 v9, 31, v15
	v_and_b32_e32 v13, s21, v9
	v_and_b32_e32 v12, s20, v9
	v_lshl_add_u64 v[12:13], v[12:13], 0, v[14:15]
	v_mov_b32_e32 v9, s21
	v_sub_co_u32_e32 v14, vcc, s20, v12
	s_nop 1
	v_subb_co_u32_e32 v9, vcc, v9, v13, vcc
	v_cmp_gt_i64_e32 vcc, s[16:17], v[12:13]
	s_nop 1
	v_cndmask_b32_e32 v13, v9, v13, vcc
	v_cndmask_b32_e32 v12, v14, v12, vcc
.LBB42_54:                              ;   in Loop: Header=BB42_55 Depth=1
	v_mul_lo_u32 v9, v11, s16
	v_mul_lo_u32 v14, v10, s17
	v_mad_u64_u32 v[10:11], s[2:3], v10, s16, 0
	v_add3_u32 v11, v11, v14, v9
	v_lshl_add_u64 v[10:11], v[10:11], 1, s[12:13]
	v_lshl_add_u64 v[10:11], v[12:13], 1, v[10:11]
	global_load_ushort v9, v[10:11], off
	v_lshl_add_u64 v[2:3], v[2:3], 0, s[10:11]
	v_cmp_le_i64_e32 vcc, s[6:7], v[2:3]
	s_or_b64 s[24:25], vcc, s[24:25]
	s_waitcnt vmcnt(0)
	global_store_short v[0:1], v9, off
	v_lshl_add_u64 v[0:1], v[0:1], 0, v[6:7]
	s_andn2_b64 exec, exec, s[24:25]
	s_cbranch_execz .LBB42_64
.LBB42_55:                              ; =>This Inner Loop Header: Depth=1
	v_or_b32_e32 v9, s9, v3
	v_cmp_ne_u64_e32 vcc, 0, v[8:9]
                                        ; implicit-def: $vgpr10_vgpr11
	s_and_saveexec_b64 s[2:3], vcc
	s_xor_b64 s[4:5], exec, s[2:3]
	s_cbranch_execnz .LBB42_58
; %bb.56:                               ;   in Loop: Header=BB42_55 Depth=1
	s_andn2_saveexec_b64 s[2:3], s[4:5]
	s_cbranch_execnz .LBB42_59
.LBB42_57:                              ;   in Loop: Header=BB42_55 Depth=1
	s_or_b64 exec, exec, s[2:3]
	s_and_b64 vcc, exec, s[0:1]
	v_mov_b64_e32 v[12:13], 0
	s_cbranch_vccnz .LBB42_54
	s_branch .LBB42_60
.LBB42_58:                              ;   in Loop: Header=BB42_55 Depth=1
	s_add_u32 s2, s8, s14
	s_mov_b32 s15, s14
	s_addc_u32 s3, s9, s14
	s_xor_b64 s[26:27], s[2:3], s[14:15]
	v_cvt_f32_u32_e32 v9, s26
	v_cvt_f32_u32_e32 v10, s27
	s_sub_u32 s15, 0, s26
	s_subb_u32 s23, 0, s27
	v_mov_b32_e32 v15, v8
	v_fmac_f32_e32 v9, 0x4f800000, v10
	v_rcp_f32_e32 v9, v9
	s_nop 0
	v_mul_f32_e32 v9, 0x5f7ffffc, v9
	v_mul_f32_e32 v10, 0x2f800000, v9
	v_trunc_f32_e32 v10, v10
	v_fmac_f32_e32 v9, 0xcf800000, v10
	v_cvt_u32_f32_e32 v10, v10
	v_cvt_u32_f32_e32 v9, v9
	v_readfirstlane_b32 s28, v10
	v_readfirstlane_b32 s2, v9
	s_mul_i32 s3, s15, s28
	s_mul_hi_u32 s30, s15, s2
	s_mul_i32 s29, s23, s2
	s_add_i32 s3, s30, s3
	s_add_i32 s3, s3, s29
	s_mul_i32 s31, s15, s2
	s_mul_i32 s30, s2, s3
	s_mul_hi_u32 s33, s2, s31
	s_mul_hi_u32 s29, s2, s3
	s_add_u32 s30, s33, s30
	s_addc_u32 s29, 0, s29
	s_mul_hi_u32 s34, s28, s31
	s_mul_i32 s31, s28, s31
	s_add_u32 s30, s30, s31
	s_mul_hi_u32 s33, s28, s3
	s_addc_u32 s29, s29, s34
	s_addc_u32 s30, s33, 0
	s_mul_i32 s3, s28, s3
	s_add_u32 s3, s29, s3
	s_addc_u32 s29, 0, s30
	s_add_u32 s30, s2, s3
	s_cselect_b64 s[2:3], -1, 0
	s_cmp_lg_u64 s[2:3], 0
	s_addc_u32 s28, s28, s29
	s_mul_i32 s2, s15, s28
	s_mul_hi_u32 s3, s15, s30
	s_add_i32 s2, s3, s2
	s_mul_i32 s23, s23, s30
	s_add_i32 s2, s2, s23
	s_mul_i32 s15, s15, s30
	s_mul_hi_u32 s23, s28, s15
	s_mul_i32 s29, s28, s15
	s_mul_i32 s33, s30, s2
	s_mul_hi_u32 s15, s30, s15
	s_mul_hi_u32 s31, s30, s2
	s_add_u32 s15, s15, s33
	s_addc_u32 s31, 0, s31
	s_add_u32 s15, s15, s29
	s_mul_hi_u32 s3, s28, s2
	s_addc_u32 s15, s31, s23
	s_addc_u32 s3, s3, 0
	s_mul_i32 s2, s28, s2
	s_add_u32 s2, s15, s2
	s_addc_u32 s15, 0, s3
	s_add_u32 s23, s30, s2
	v_ashrrev_i32_e32 v10, 31, v3
	s_cselect_b64 s[2:3], -1, 0
	v_mov_b32_e32 v11, v10
	s_cmp_lg_u64 s[2:3], 0
	v_lshl_add_u64 v[12:13], v[2:3], 0, v[10:11]
	s_addc_u32 s15, s28, s15
	v_xor_b32_e32 v11, v12, v10
	v_xor_b32_e32 v9, v13, v10
	v_mad_u64_u32 v[12:13], s[2:3], v11, s15, 0
	v_mul_hi_u32 v14, v11, s23
	v_lshl_add_u64 v[12:13], v[14:15], 0, v[12:13]
	v_mad_u64_u32 v[18:19], s[2:3], v9, s23, 0
	v_add_co_u32_e32 v12, vcc, v12, v18
	v_mad_u64_u32 v[14:15], s[2:3], v9, s15, 0
	s_nop 0
	v_addc_co_u32_e32 v12, vcc, v13, v19, vcc
	v_mov_b32_e32 v13, v8
	s_nop 0
	v_addc_co_u32_e32 v15, vcc, 0, v15, vcc
	v_lshl_add_u64 v[12:13], v[12:13], 0, v[14:15]
	v_mul_lo_u32 v17, s27, v12
	v_mul_lo_u32 v18, s26, v13
	v_mad_u64_u32 v[14:15], s[2:3], s26, v12, 0
	v_add3_u32 v17, v15, v18, v17
	v_sub_u32_e32 v15, v9, v17
	v_mov_b32_e32 v18, s27
	v_sub_co_u32_e32 v11, vcc, v11, v14
	s_nop 1
	v_subb_co_u32_e64 v14, s[2:3], v15, v18, vcc
	v_subrev_co_u32_e64 v15, s[2:3], s26, v11
	v_subb_co_u32_e32 v9, vcc, v9, v17, vcc
	s_nop 0
	v_subbrev_co_u32_e64 v14, s[2:3], 0, v14, s[2:3]
	v_cmp_le_u32_e64 s[2:3], s27, v14
	v_cmp_le_u32_e32 vcc, s27, v9
	s_nop 0
	v_cndmask_b32_e64 v18, 0, -1, s[2:3]
	v_cmp_le_u32_e64 s[2:3], s26, v15
	v_cndmask_b32_e64 v17, 0, -1, vcc
	v_cmp_le_u32_e32 vcc, s26, v11
	v_cndmask_b32_e64 v15, 0, -1, s[2:3]
	v_cmp_eq_u32_e64 s[2:3], s27, v14
	v_cndmask_b32_e64 v11, 0, -1, vcc
	v_cmp_eq_u32_e32 vcc, s27, v9
	v_cndmask_b32_e64 v20, v18, v15, s[2:3]
	v_lshl_add_u64 v[14:15], v[12:13], 0, 2
	v_lshl_add_u64 v[18:19], v[12:13], 0, 1
	v_cmp_ne_u32_e64 s[2:3], 0, v20
	v_cndmask_b32_e32 v9, v17, v11, vcc
	v_cmp_ne_u32_e32 vcc, 0, v9
	v_cndmask_b32_e64 v11, v18, v14, s[2:3]
	v_cndmask_b32_e64 v15, v19, v15, s[2:3]
	v_cndmask_b32_e32 v11, v12, v11, vcc
	v_xor_b32_e32 v12, s14, v10
	v_cndmask_b32_e32 v9, v13, v15, vcc
	v_xor_b32_e32 v10, v11, v12
	v_xor_b32_e32 v9, v9, v12
	v_sub_co_u32_e32 v10, vcc, v10, v12
	s_nop 1
	v_subb_co_u32_e32 v11, vcc, v9, v12, vcc
	s_andn2_saveexec_b64 s[2:3], s[4:5]
	s_cbranch_execz .LBB42_57
.LBB42_59:                              ;   in Loop: Header=BB42_55 Depth=1
	v_mul_hi_u32 v9, v2, v16
	v_mul_lo_u32 v10, v9, s8
	v_sub_u32_e32 v10, v2, v10
	v_subrev_u32_e32 v11, s8, v10
	v_cmp_le_u32_e32 vcc, s8, v10
	s_nop 1
	v_cndmask_b32_e32 v10, v10, v11, vcc
	v_add_u32_e32 v11, 1, v9
	v_cndmask_b32_e32 v9, v9, v11, vcc
	v_add_u32_e32 v11, 1, v9
	v_cmp_le_u32_e32 vcc, s8, v10
	s_nop 1
	v_cndmask_b32_e32 v10, v9, v11, vcc
	v_mov_b32_e32 v11, v8
	s_or_b64 exec, exec, s[2:3]
	s_and_b64 vcc, exec, s[0:1]
	v_mov_b64_e32 v[12:13], 0
	s_cbranch_vccnz .LBB42_54
.LBB42_60:                              ;   in Loop: Header=BB42_55 Depth=1
	v_lshl_add_u64 v[12:13], s[18:19], 0, v[2:3]
	v_mul_lo_u32 v9, v4, v11
	v_mul_lo_u32 v14, v5, v10
	v_mad_u64_u32 v[12:13], s[2:3], v4, v10, v[12:13]
	v_add3_u32 v13, v14, v13, v9
	v_or_b32_e32 v9, s21, v13
	v_cmp_ne_u64_e32 vcc, 0, v[8:9]
                                        ; implicit-def: $vgpr14_vgpr15
	s_and_saveexec_b64 s[2:3], vcc
	s_xor_b64 s[26:27], exec, s[2:3]
	s_cbranch_execz .LBB42_62
; %bb.61:                               ;   in Loop: Header=BB42_55 Depth=1
	s_add_u32 s2, s20, s22
	s_mov_b32 s23, s22
	s_addc_u32 s3, s21, s22
	s_xor_b64 s[28:29], s[2:3], s[22:23]
	v_cvt_f32_u32_e32 v9, s28
	v_cvt_f32_u32_e32 v14, s29
	s_sub_u32 s4, 0, s28
	s_subb_u32 s5, 0, s29
	v_ashrrev_i32_e32 v18, 31, v13
	v_fmac_f32_e32 v9, 0x4f800000, v14
	v_rcp_f32_e32 v9, v9
	v_mov_b32_e32 v19, v18
	v_lshl_add_u64 v[12:13], v[12:13], 0, v[18:19]
	v_xor_b32_e32 v17, v12, v18
	v_mul_f32_e32 v9, 0x5f7ffffc, v9
	v_mul_f32_e32 v14, 0x2f800000, v9
	v_trunc_f32_e32 v14, v14
	v_fmac_f32_e32 v9, 0xcf800000, v14
	v_cvt_u32_f32_e32 v14, v14
	v_cvt_u32_f32_e32 v9, v9
	v_mov_b32_e32 v15, v8
	v_readfirstlane_b32 s15, v14
	v_readfirstlane_b32 s2, v9
	s_mul_i32 s3, s4, s15
	s_mul_hi_u32 s30, s4, s2
	s_mul_i32 s23, s5, s2
	s_add_i32 s3, s30, s3
	s_add_i32 s3, s3, s23
	s_mul_i32 s31, s4, s2
	s_mul_i32 s30, s2, s3
	s_mul_hi_u32 s33, s2, s31
	s_mul_hi_u32 s23, s2, s3
	s_add_u32 s30, s33, s30
	s_addc_u32 s23, 0, s23
	s_mul_hi_u32 s34, s15, s31
	s_mul_i32 s31, s15, s31
	s_add_u32 s30, s30, s31
	s_mul_hi_u32 s33, s15, s3
	s_addc_u32 s23, s23, s34
	s_addc_u32 s30, s33, 0
	s_mul_i32 s3, s15, s3
	s_add_u32 s3, s23, s3
	s_addc_u32 s23, 0, s30
	s_add_u32 s30, s2, s3
	s_cselect_b64 s[2:3], -1, 0
	s_cmp_lg_u64 s[2:3], 0
	s_addc_u32 s15, s15, s23
	s_mul_i32 s2, s4, s15
	s_mul_hi_u32 s3, s4, s30
	s_add_i32 s2, s3, s2
	s_mul_i32 s5, s5, s30
	s_add_i32 s2, s2, s5
	s_mul_i32 s4, s4, s30
	s_mul_hi_u32 s5, s15, s4
	s_mul_i32 s23, s15, s4
	s_mul_i32 s33, s30, s2
	s_mul_hi_u32 s4, s30, s4
	s_mul_hi_u32 s31, s30, s2
	s_add_u32 s4, s4, s33
	s_addc_u32 s31, 0, s31
	s_add_u32 s4, s4, s23
	s_mul_hi_u32 s3, s15, s2
	s_addc_u32 s4, s31, s5
	s_addc_u32 s3, s3, 0
	s_mul_i32 s2, s15, s2
	s_add_u32 s2, s4, s2
	s_addc_u32 s4, 0, s3
	s_add_u32 s5, s30, s2
	s_cselect_b64 s[2:3], -1, 0
	s_cmp_lg_u64 s[2:3], 0
	s_addc_u32 s4, s15, s4
	v_xor_b32_e32 v9, v13, v18
	v_mad_u64_u32 v[12:13], s[2:3], v17, s4, 0
	v_mul_hi_u32 v14, v17, s5
	v_lshl_add_u64 v[12:13], v[14:15], 0, v[12:13]
	v_mad_u64_u32 v[20:21], s[2:3], v9, s5, 0
	v_add_co_u32_e32 v12, vcc, v12, v20
	v_mad_u64_u32 v[14:15], s[2:3], v9, s4, 0
	s_nop 0
	v_addc_co_u32_e32 v12, vcc, v13, v21, vcc
	v_mov_b32_e32 v13, v8
	s_nop 0
	v_addc_co_u32_e32 v15, vcc, 0, v15, vcc
	v_lshl_add_u64 v[12:13], v[12:13], 0, v[14:15]
	v_mul_lo_u32 v14, s29, v12
	v_mul_lo_u32 v15, s28, v13
	v_mad_u64_u32 v[12:13], s[2:3], s28, v12, 0
	v_add3_u32 v13, v13, v15, v14
	v_sub_u32_e32 v14, v9, v13
	v_mov_b32_e32 v15, s29
	v_sub_co_u32_e32 v12, vcc, v17, v12
	s_nop 1
	v_subb_co_u32_e64 v14, s[2:3], v14, v15, vcc
	v_subrev_co_u32_e64 v17, s[2:3], s28, v12
	v_subb_co_u32_e32 v9, vcc, v9, v13, vcc
	s_nop 0
	v_subbrev_co_u32_e64 v19, s[4:5], 0, v14, s[2:3]
	v_cmp_le_u32_e64 s[4:5], s29, v19
	v_subb_co_u32_e64 v14, s[2:3], v14, v15, s[2:3]
	s_nop 0
	v_cndmask_b32_e64 v20, 0, -1, s[4:5]
	v_cmp_le_u32_e64 s[4:5], s28, v17
	v_subrev_co_u32_e64 v15, s[2:3], s28, v17
	s_nop 0
	v_cndmask_b32_e64 v21, 0, -1, s[4:5]
	v_cmp_eq_u32_e64 s[4:5], s29, v19
	v_subbrev_co_u32_e64 v14, s[2:3], 0, v14, s[2:3]
	s_nop 0
	v_cndmask_b32_e64 v20, v20, v21, s[4:5]
	v_cmp_le_u32_e32 vcc, s29, v9
	v_cmp_ne_u32_e64 s[2:3], 0, v20
	s_nop 0
	v_cndmask_b32_e64 v13, 0, -1, vcc
	v_cmp_le_u32_e32 vcc, s28, v12
	v_cndmask_b32_e64 v14, v19, v14, s[2:3]
	s_nop 0
	v_cndmask_b32_e64 v19, 0, -1, vcc
	v_cmp_eq_u32_e32 vcc, s29, v9
	s_nop 1
	v_cndmask_b32_e32 v13, v13, v19, vcc
	v_cmp_ne_u32_e32 vcc, 0, v13
	v_cndmask_b32_e64 v13, v17, v15, s[2:3]
	s_nop 0
	v_cndmask_b32_e32 v12, v12, v13, vcc
	v_cndmask_b32_e32 v9, v9, v14, vcc
	v_xor_b32_e32 v12, v12, v18
	v_xor_b32_e32 v9, v9, v18
	v_sub_co_u32_e32 v14, vcc, v12, v18
                                        ; implicit-def: $vgpr12_vgpr13
	s_nop 1
	v_subb_co_u32_e32 v15, vcc, v9, v18, vcc
.LBB42_62:                              ;   in Loop: Header=BB42_55 Depth=1
	s_andn2_saveexec_b64 s[2:3], s[26:27]
	s_cbranch_execz .LBB42_53
; %bb.63:                               ;   in Loop: Header=BB42_55 Depth=1
	v_cvt_f32_u32_e32 v9, s20
	s_sub_i32 s4, 0, s20
	v_mov_b32_e32 v15, v8
	v_rcp_iflag_f32_e32 v9, v9
	s_nop 0
	v_mul_f32_e32 v9, 0x4f7ffffe, v9
	v_cvt_u32_f32_e32 v9, v9
	v_mul_lo_u32 v13, s4, v9
	v_mul_hi_u32 v13, v9, v13
	v_add_u32_e32 v9, v9, v13
	v_mul_hi_u32 v9, v12, v9
	v_mul_lo_u32 v9, v9, s20
	v_sub_u32_e32 v9, v12, v9
	v_subrev_u32_e32 v12, s20, v9
	v_cmp_le_u32_e32 vcc, s20, v9
	s_nop 1
	v_cndmask_b32_e32 v9, v9, v12, vcc
	v_subrev_u32_e32 v12, s20, v9
	v_cmp_le_u32_e32 vcc, s20, v9
	s_nop 1
	v_cndmask_b32_e32 v14, v9, v12, vcc
	s_branch .LBB42_53
.LBB42_64:
	s_endpgm
	.section	.rodata,"a",@progbits
	.p2align	6, 0x0
	.amdhsa_kernel _ZN2at6native12_GLOBAL__N_121reflection_pad1d_flatIN3c104HalfEEEvPKT_PS5_lllll
		.amdhsa_group_segment_fixed_size 0
		.amdhsa_private_segment_fixed_size 0
		.amdhsa_kernarg_size 312
		.amdhsa_user_sgpr_count 2
		.amdhsa_user_sgpr_dispatch_ptr 0
		.amdhsa_user_sgpr_queue_ptr 0
		.amdhsa_user_sgpr_kernarg_segment_ptr 1
		.amdhsa_user_sgpr_dispatch_id 0
		.amdhsa_user_sgpr_kernarg_preload_length 0
		.amdhsa_user_sgpr_kernarg_preload_offset 0
		.amdhsa_user_sgpr_private_segment_size 0
		.amdhsa_uses_dynamic_stack 0
		.amdhsa_enable_private_segment 0
		.amdhsa_system_sgpr_workgroup_id_x 1
		.amdhsa_system_sgpr_workgroup_id_y 0
		.amdhsa_system_sgpr_workgroup_id_z 0
		.amdhsa_system_sgpr_workgroup_info 0
		.amdhsa_system_vgpr_workitem_id 0
		.amdhsa_next_free_vgpr 52
		.amdhsa_next_free_sgpr 73
		.amdhsa_accum_offset 52
		.amdhsa_reserve_vcc 1
		.amdhsa_float_round_mode_32 0
		.amdhsa_float_round_mode_16_64 0
		.amdhsa_float_denorm_mode_32 3
		.amdhsa_float_denorm_mode_16_64 3
		.amdhsa_dx10_clamp 1
		.amdhsa_ieee_mode 1
		.amdhsa_fp16_overflow 0
		.amdhsa_tg_split 0
		.amdhsa_exception_fp_ieee_invalid_op 0
		.amdhsa_exception_fp_denorm_src 0
		.amdhsa_exception_fp_ieee_div_zero 0
		.amdhsa_exception_fp_ieee_overflow 0
		.amdhsa_exception_fp_ieee_underflow 0
		.amdhsa_exception_fp_ieee_inexact 0
		.amdhsa_exception_int_div_zero 0
	.end_amdhsa_kernel
	.section	.text._ZN2at6native12_GLOBAL__N_121reflection_pad1d_flatIN3c104HalfEEEvPKT_PS5_lllll,"axG",@progbits,_ZN2at6native12_GLOBAL__N_121reflection_pad1d_flatIN3c104HalfEEEvPKT_PS5_lllll,comdat
.Lfunc_end42:
	.size	_ZN2at6native12_GLOBAL__N_121reflection_pad1d_flatIN3c104HalfEEEvPKT_PS5_lllll, .Lfunc_end42-_ZN2at6native12_GLOBAL__N_121reflection_pad1d_flatIN3c104HalfEEEvPKT_PS5_lllll
                                        ; -- End function
	.set _ZN2at6native12_GLOBAL__N_121reflection_pad1d_flatIN3c104HalfEEEvPKT_PS5_lllll.num_vgpr, 52
	.set _ZN2at6native12_GLOBAL__N_121reflection_pad1d_flatIN3c104HalfEEEvPKT_PS5_lllll.num_agpr, 0
	.set _ZN2at6native12_GLOBAL__N_121reflection_pad1d_flatIN3c104HalfEEEvPKT_PS5_lllll.numbered_sgpr, 73
	.set _ZN2at6native12_GLOBAL__N_121reflection_pad1d_flatIN3c104HalfEEEvPKT_PS5_lllll.num_named_barrier, 0
	.set _ZN2at6native12_GLOBAL__N_121reflection_pad1d_flatIN3c104HalfEEEvPKT_PS5_lllll.private_seg_size, 0
	.set _ZN2at6native12_GLOBAL__N_121reflection_pad1d_flatIN3c104HalfEEEvPKT_PS5_lllll.uses_vcc, 1
	.set _ZN2at6native12_GLOBAL__N_121reflection_pad1d_flatIN3c104HalfEEEvPKT_PS5_lllll.uses_flat_scratch, 0
	.set _ZN2at6native12_GLOBAL__N_121reflection_pad1d_flatIN3c104HalfEEEvPKT_PS5_lllll.has_dyn_sized_stack, 0
	.set _ZN2at6native12_GLOBAL__N_121reflection_pad1d_flatIN3c104HalfEEEvPKT_PS5_lllll.has_recursion, 0
	.set _ZN2at6native12_GLOBAL__N_121reflection_pad1d_flatIN3c104HalfEEEvPKT_PS5_lllll.has_indirect_call, 0
	.section	.AMDGPU.csdata,"",@progbits
; Kernel info:
; codeLenInByte = 10416
; TotalNumSgprs: 79
; NumVgprs: 52
; NumAgprs: 0
; TotalNumVgprs: 52
; ScratchSize: 0
; MemoryBound: 0
; FloatMode: 240
; IeeeMode: 1
; LDSByteSize: 0 bytes/workgroup (compile time only)
; SGPRBlocks: 9
; VGPRBlocks: 6
; NumSGPRsForWavesPerEU: 79
; NumVGPRsForWavesPerEU: 52
; AccumOffset: 52
; Occupancy: 8
; WaveLimiterHint : 0
; COMPUTE_PGM_RSRC2:SCRATCH_EN: 0
; COMPUTE_PGM_RSRC2:USER_SGPR: 2
; COMPUTE_PGM_RSRC2:TRAP_HANDLER: 0
; COMPUTE_PGM_RSRC2:TGID_X_EN: 1
; COMPUTE_PGM_RSRC2:TGID_Y_EN: 0
; COMPUTE_PGM_RSRC2:TGID_Z_EN: 0
; COMPUTE_PGM_RSRC2:TIDIG_COMP_CNT: 0
; COMPUTE_PGM_RSRC3_GFX90A:ACCUM_OFFSET: 12
; COMPUTE_PGM_RSRC3_GFX90A:TG_SPLIT: 0
	.section	.text._ZN2at6native12_GLOBAL__N_127reflection_pad1d_out_kernelIN3c108BFloat16EEEvPKT_PS5_lll,"axG",@progbits,_ZN2at6native12_GLOBAL__N_127reflection_pad1d_out_kernelIN3c108BFloat16EEEvPKT_PS5_lll,comdat
	.globl	_ZN2at6native12_GLOBAL__N_127reflection_pad1d_out_kernelIN3c108BFloat16EEEvPKT_PS5_lll ; -- Begin function _ZN2at6native12_GLOBAL__N_127reflection_pad1d_out_kernelIN3c108BFloat16EEEvPKT_PS5_lll
	.p2align	8
	.type	_ZN2at6native12_GLOBAL__N_127reflection_pad1d_out_kernelIN3c108BFloat16EEEvPKT_PS5_lll,@function
_ZN2at6native12_GLOBAL__N_127reflection_pad1d_out_kernelIN3c108BFloat16EEEvPKT_PS5_lll: ; @_ZN2at6native12_GLOBAL__N_127reflection_pad1d_out_kernelIN3c108BFloat16EEEvPKT_PS5_lll
; %bb.0:
	s_load_dword s5, s[0:1], 0x34
	s_load_dwordx2 s[16:17], s[0:1], 0x20
	s_load_dwordx8 s[8:15], s[0:1], 0x0
	s_add_u32 s6, s0, 40
	s_addc_u32 s7, s1, 0
	s_waitcnt lgkmcnt(0)
	s_and_b32 s0, s5, 0xffff
	v_mov_b32_e32 v1, 0
	v_mov_b32_e32 v2, s2
	s_add_u32 s2, s14, s12
	v_mad_u64_u32 v[0:1], s[0:1], s0, v2, v[0:1]
	s_addc_u32 s5, s15, s13
	s_add_u32 s0, s2, s16
	s_addc_u32 s1, s5, s17
	v_cmp_gt_i64_e32 vcc, s[0:1], v[0:1]
	s_and_saveexec_b64 s[16:17], vcc
	s_cbranch_execz .LBB43_2
; %bb.1:
	s_load_dword s16, s[6:7], 0x4
	s_sub_u32 s6, 0, s14
	v_mov_b32_e32 v4, s15
	v_subrev_co_u32_e32 v5, vcc, s14, v0
	s_waitcnt lgkmcnt(0)
	s_mul_i32 s4, s16, s4
	s_subb_u32 s7, 0, s15
	s_add_i32 s4, s4, s3
	v_subb_co_u32_e32 v4, vcc, v1, v4, vcc
	v_mov_b32_e32 v2, s8
	s_mul_i32 s3, s13, s4
	s_mul_hi_u32 s8, s12, s4
	v_ashrrev_i32_e32 v6, 31, v4
	v_mov_b32_e32 v3, s9
	s_add_i32 s9, s8, s3
	s_mul_i32 s1, s1, s4
	s_mul_hi_u32 s3, s0, s4
	v_xor_b32_e32 v7, v4, v6
	v_xor_b32_e32 v4, v5, v6
	s_mul_i32 s8, s12, s4
	s_add_i32 s1, s3, s1
	v_cmp_gt_i64_e64 s[12:13], s[6:7], 0
	v_sub_co_u32_e32 v4, vcc, v4, v6
	s_and_b64 s[12:13], s[12:13], exec
	s_nop 0
	v_subb_co_u32_e32 v5, vcc, v7, v6, vcc
	s_cselect_b32 s12, s7, 0
	s_cselect_b32 s13, s6, 0
	v_cmp_gt_i64_e64 s[6:7], s[14:15], 0
	v_mov_b32_e32 v7, s5
	v_subrev_co_u32_e32 v6, vcc, s2, v0
	s_and_b64 s[6:7], s[6:7], exec
	s_nop 0
	v_subb_co_u32_e32 v7, vcc, v1, v7, vcc
	s_cselect_b32 s7, s15, 0
	s_cselect_b32 s6, s14, 0
	v_lshl_add_u64 v[6:7], v[6:7], 0, 1
	s_add_u32 s14, s2, s14
	v_ashrrev_i32_e32 v8, 31, v7
	s_addc_u32 s5, s5, s15
	s_not_b64 s[2:3], s[6:7]
	v_xor_b32_e32 v6, v6, v8
	s_add_u32 s2, s14, s2
	v_xor_b32_e32 v7, v7, v8
	v_sub_co_u32_e32 v6, vcc, v6, v8
	s_addc_u32 s3, s5, s3
	s_nop 0
	v_subb_co_u32_e32 v7, vcc, v7, v8, vcc
	s_add_u32 s2, s2, s13
	v_lshl_add_u64 v[6:7], v[0:1], 0, v[6:7]
	s_addc_u32 s3, s3, s12
	v_mov_b32_e32 v8, s3
	v_sub_co_u32_e32 v6, vcc, s2, v6
	s_mul_i32 s0, s0, s4
	s_nop 0
	v_subb_co_u32_e32 v7, vcc, v8, v7, vcc
	v_lshl_add_u64 v[2:3], v[6:7], 1, v[2:3]
	v_lshl_add_u64 v[2:3], v[4:5], 1, v[2:3]
	;; [unrolled: 1-line block ×3, first 2 shown]
	global_load_ushort v2, v[2:3], off
	s_lshl_b64 s[0:1], s[0:1], 1
	s_add_u32 s0, s10, s0
	s_addc_u32 s1, s11, s1
	v_lshl_add_u64 v[0:1], v[0:1], 1, s[0:1]
	s_waitcnt vmcnt(0)
	global_store_short v[0:1], v2, off
.LBB43_2:
	s_endpgm
	.section	.rodata,"a",@progbits
	.p2align	6, 0x0
	.amdhsa_kernel _ZN2at6native12_GLOBAL__N_127reflection_pad1d_out_kernelIN3c108BFloat16EEEvPKT_PS5_lll
		.amdhsa_group_segment_fixed_size 0
		.amdhsa_private_segment_fixed_size 0
		.amdhsa_kernarg_size 296
		.amdhsa_user_sgpr_count 2
		.amdhsa_user_sgpr_dispatch_ptr 0
		.amdhsa_user_sgpr_queue_ptr 0
		.amdhsa_user_sgpr_kernarg_segment_ptr 1
		.amdhsa_user_sgpr_dispatch_id 0
		.amdhsa_user_sgpr_kernarg_preload_length 0
		.amdhsa_user_sgpr_kernarg_preload_offset 0
		.amdhsa_user_sgpr_private_segment_size 0
		.amdhsa_uses_dynamic_stack 0
		.amdhsa_enable_private_segment 0
		.amdhsa_system_sgpr_workgroup_id_x 1
		.amdhsa_system_sgpr_workgroup_id_y 1
		.amdhsa_system_sgpr_workgroup_id_z 1
		.amdhsa_system_sgpr_workgroup_info 0
		.amdhsa_system_vgpr_workitem_id 0
		.amdhsa_next_free_vgpr 9
		.amdhsa_next_free_sgpr 18
		.amdhsa_accum_offset 12
		.amdhsa_reserve_vcc 1
		.amdhsa_float_round_mode_32 0
		.amdhsa_float_round_mode_16_64 0
		.amdhsa_float_denorm_mode_32 3
		.amdhsa_float_denorm_mode_16_64 3
		.amdhsa_dx10_clamp 1
		.amdhsa_ieee_mode 1
		.amdhsa_fp16_overflow 0
		.amdhsa_tg_split 0
		.amdhsa_exception_fp_ieee_invalid_op 0
		.amdhsa_exception_fp_denorm_src 0
		.amdhsa_exception_fp_ieee_div_zero 0
		.amdhsa_exception_fp_ieee_overflow 0
		.amdhsa_exception_fp_ieee_underflow 0
		.amdhsa_exception_fp_ieee_inexact 0
		.amdhsa_exception_int_div_zero 0
	.end_amdhsa_kernel
	.section	.text._ZN2at6native12_GLOBAL__N_127reflection_pad1d_out_kernelIN3c108BFloat16EEEvPKT_PS5_lll,"axG",@progbits,_ZN2at6native12_GLOBAL__N_127reflection_pad1d_out_kernelIN3c108BFloat16EEEvPKT_PS5_lll,comdat
.Lfunc_end43:
	.size	_ZN2at6native12_GLOBAL__N_127reflection_pad1d_out_kernelIN3c108BFloat16EEEvPKT_PS5_lll, .Lfunc_end43-_ZN2at6native12_GLOBAL__N_127reflection_pad1d_out_kernelIN3c108BFloat16EEEvPKT_PS5_lll
                                        ; -- End function
	.set _ZN2at6native12_GLOBAL__N_127reflection_pad1d_out_kernelIN3c108BFloat16EEEvPKT_PS5_lll.num_vgpr, 9
	.set _ZN2at6native12_GLOBAL__N_127reflection_pad1d_out_kernelIN3c108BFloat16EEEvPKT_PS5_lll.num_agpr, 0
	.set _ZN2at6native12_GLOBAL__N_127reflection_pad1d_out_kernelIN3c108BFloat16EEEvPKT_PS5_lll.numbered_sgpr, 18
	.set _ZN2at6native12_GLOBAL__N_127reflection_pad1d_out_kernelIN3c108BFloat16EEEvPKT_PS5_lll.num_named_barrier, 0
	.set _ZN2at6native12_GLOBAL__N_127reflection_pad1d_out_kernelIN3c108BFloat16EEEvPKT_PS5_lll.private_seg_size, 0
	.set _ZN2at6native12_GLOBAL__N_127reflection_pad1d_out_kernelIN3c108BFloat16EEEvPKT_PS5_lll.uses_vcc, 1
	.set _ZN2at6native12_GLOBAL__N_127reflection_pad1d_out_kernelIN3c108BFloat16EEEvPKT_PS5_lll.uses_flat_scratch, 0
	.set _ZN2at6native12_GLOBAL__N_127reflection_pad1d_out_kernelIN3c108BFloat16EEEvPKT_PS5_lll.has_dyn_sized_stack, 0
	.set _ZN2at6native12_GLOBAL__N_127reflection_pad1d_out_kernelIN3c108BFloat16EEEvPKT_PS5_lll.has_recursion, 0
	.set _ZN2at6native12_GLOBAL__N_127reflection_pad1d_out_kernelIN3c108BFloat16EEEvPKT_PS5_lll.has_indirect_call, 0
	.section	.AMDGPU.csdata,"",@progbits
; Kernel info:
; codeLenInByte = 400
; TotalNumSgprs: 24
; NumVgprs: 9
; NumAgprs: 0
; TotalNumVgprs: 9
; ScratchSize: 0
; MemoryBound: 0
; FloatMode: 240
; IeeeMode: 1
; LDSByteSize: 0 bytes/workgroup (compile time only)
; SGPRBlocks: 2
; VGPRBlocks: 1
; NumSGPRsForWavesPerEU: 24
; NumVGPRsForWavesPerEU: 9
; AccumOffset: 12
; Occupancy: 8
; WaveLimiterHint : 0
; COMPUTE_PGM_RSRC2:SCRATCH_EN: 0
; COMPUTE_PGM_RSRC2:USER_SGPR: 2
; COMPUTE_PGM_RSRC2:TRAP_HANDLER: 0
; COMPUTE_PGM_RSRC2:TGID_X_EN: 1
; COMPUTE_PGM_RSRC2:TGID_Y_EN: 1
; COMPUTE_PGM_RSRC2:TGID_Z_EN: 1
; COMPUTE_PGM_RSRC2:TIDIG_COMP_CNT: 0
; COMPUTE_PGM_RSRC3_GFX90A:ACCUM_OFFSET: 2
; COMPUTE_PGM_RSRC3_GFX90A:TG_SPLIT: 0
	.section	.text._ZN2at6native12_GLOBAL__N_121reflection_pad1d_flatIN3c108BFloat16EEEvPKT_PS5_lllll,"axG",@progbits,_ZN2at6native12_GLOBAL__N_121reflection_pad1d_flatIN3c108BFloat16EEEvPKT_PS5_lllll,comdat
	.globl	_ZN2at6native12_GLOBAL__N_121reflection_pad1d_flatIN3c108BFloat16EEEvPKT_PS5_lllll ; -- Begin function _ZN2at6native12_GLOBAL__N_121reflection_pad1d_flatIN3c108BFloat16EEEvPKT_PS5_lllll
	.p2align	8
	.type	_ZN2at6native12_GLOBAL__N_121reflection_pad1d_flatIN3c108BFloat16EEEvPKT_PS5_lllll,@function
_ZN2at6native12_GLOBAL__N_121reflection_pad1d_flatIN3c108BFloat16EEEvPKT_PS5_lllll: ; @_ZN2at6native12_GLOBAL__N_121reflection_pad1d_flatIN3c108BFloat16EEEvPKT_PS5_lllll
; %bb.0:
	s_load_dword s3, s[0:1], 0x44
	s_load_dwordx4 s[8:11], s[0:1], 0x28
	s_add_u32 s4, s0, 56
	s_addc_u32 s5, s1, 0
	v_mov_b32_e32 v1, 0
	s_waitcnt lgkmcnt(0)
	s_and_b32 s3, s3, 0xffff
	s_mul_i32 s6, s10, s9
	s_mul_hi_u32 s7, s10, s8
	s_add_i32 s6, s7, s6
	s_mul_i32 s7, s11, s8
	v_mov_b32_e32 v2, s2
	s_add_i32 s7, s6, s7
	s_mul_i32 s6, s10, s8
	v_mad_u64_u32 v[2:3], s[10:11], s3, v2, v[0:1]
	v_cmp_gt_i64_e32 vcc, s[6:7], v[2:3]
	s_and_saveexec_b64 s[10:11], vcc
	s_cbranch_execz .LBB44_64
; %bb.1:
	s_load_dword s58, s[4:5], 0x0
	v_mov_b32_e32 v4, s3
	s_mov_b32 s59, 0
	v_mov_b32_e32 v5, s59
	s_waitcnt lgkmcnt(0)
	s_add_u32 s4, s2, s58
	s_addc_u32 s5, 0, 0
	s_mul_i32 s12, s5, s3
	v_mad_u64_u32 v[10:11], s[4:5], s4, v4, v[0:1]
	v_add_u32_e32 v11, s12, v11
	v_mov_b32_e32 v4, s7
	v_cmp_gt_i64_e32 vcc, s[6:7], v[10:11]
	s_mul_hi_u32 s11, s3, s58
	s_mul_i32 s10, s3, s58
	v_cndmask_b32_e32 v9, v11, v4, vcc
	v_mov_b32_e32 v4, s6
	v_cndmask_b32_e32 v8, v10, v4, vcc
	v_cndmask_b32_e64 v4, 0, 1, vcc
	v_lshl_add_u64 v[6:7], v[10:11], 0, v[4:5]
	v_sub_co_u32_e32 v8, vcc, v8, v6
	v_mov_b32_e32 v6, v1
	s_nop 0
	v_subb_co_u32_e32 v9, vcc, v9, v7, vcc
	v_or_b32_e32 v7, s11, v9
	v_cmp_ne_u64_e32 vcc, 0, v[6:7]
                                        ; implicit-def: $vgpr6_vgpr7
	s_and_saveexec_b64 s[4:5], vcc
	s_xor_b64 s[12:13], exec, s[4:5]
	s_cbranch_execz .LBB44_3
; %bb.2:
	v_cvt_f32_u32_e32 v6, s10
	v_cvt_f32_u32_e32 v7, s11
	s_sub_u32 s14, 0, s10
	s_subb_u32 s15, 0, s11
	v_mov_b32_e32 v13, 0
	v_fmamk_f32 v6, v7, 0x4f800000, v6
	v_rcp_f32_e32 v6, v6
	s_nop 0
	v_mul_f32_e32 v6, 0x5f7ffffc, v6
	v_mul_f32_e32 v7, 0x2f800000, v6
	v_trunc_f32_e32 v7, v7
	v_fmamk_f32 v6, v7, 0xcf800000, v6
	v_cvt_u32_f32_e32 v7, v7
	v_cvt_u32_f32_e32 v6, v6
	v_readfirstlane_b32 s16, v7
	v_readfirstlane_b32 s4, v6
	s_mul_i32 s5, s14, s16
	s_mul_hi_u32 s18, s14, s4
	s_mul_i32 s17, s15, s4
	s_add_i32 s5, s18, s5
	s_mul_i32 s19, s14, s4
	s_add_i32 s5, s5, s17
	s_mul_i32 s18, s4, s5
	s_mul_hi_u32 s20, s4, s19
	s_mul_hi_u32 s17, s4, s5
	s_add_u32 s18, s20, s18
	s_addc_u32 s17, 0, s17
	s_mul_hi_u32 s21, s16, s19
	s_mul_i32 s19, s16, s19
	s_add_u32 s18, s18, s19
	s_mul_hi_u32 s20, s16, s5
	s_addc_u32 s17, s17, s21
	s_addc_u32 s18, s20, 0
	s_mul_i32 s5, s16, s5
	s_add_u32 s5, s17, s5
	s_addc_u32 s17, 0, s18
	s_add_u32 s18, s4, s5
	s_cselect_b64 s[4:5], -1, 0
	s_cmp_lg_u64 s[4:5], 0
	s_addc_u32 s16, s16, s17
	s_mul_i32 s4, s14, s16
	s_mul_hi_u32 s5, s14, s18
	s_add_i32 s4, s5, s4
	s_mul_i32 s15, s15, s18
	s_add_i32 s4, s4, s15
	s_mul_i32 s14, s14, s18
	s_mul_hi_u32 s15, s16, s14
	s_mul_i32 s17, s16, s14
	s_mul_i32 s20, s18, s4
	s_mul_hi_u32 s14, s18, s14
	s_mul_hi_u32 s19, s18, s4
	s_add_u32 s14, s14, s20
	s_addc_u32 s19, 0, s19
	s_add_u32 s14, s14, s17
	s_mul_hi_u32 s5, s16, s4
	s_addc_u32 s14, s19, s15
	s_addc_u32 s5, s5, 0
	s_mul_i32 s4, s16, s4
	s_add_u32 s4, s14, s4
	s_addc_u32 s14, 0, s5
	s_add_u32 s15, s18, s4
	s_cselect_b64 s[4:5], -1, 0
	s_cmp_lg_u64 s[4:5], 0
	s_addc_u32 s14, s16, s14
	v_mad_u64_u32 v[6:7], s[4:5], v8, s14, 0
	v_mul_hi_u32 v12, v8, s15
	v_lshl_add_u64 v[6:7], v[12:13], 0, v[6:7]
	v_mad_u64_u32 v[16:17], s[4:5], v9, s15, 0
	v_add_co_u32_e32 v6, vcc, v6, v16
	v_mad_u64_u32 v[14:15], s[4:5], v9, s14, 0
	s_nop 0
	v_addc_co_u32_e32 v12, vcc, v7, v17, vcc
	s_nop 1
	v_addc_co_u32_e32 v15, vcc, 0, v15, vcc
	v_lshl_add_u64 v[6:7], v[12:13], 0, v[14:15]
	v_mul_lo_u32 v14, s11, v6
	v_mul_lo_u32 v15, s10, v7
	v_mad_u64_u32 v[12:13], s[4:5], s10, v6, 0
	v_add3_u32 v16, v13, v15, v14
	v_sub_u32_e32 v13, v9, v16
	v_mov_b32_e32 v14, s11
	v_sub_co_u32_e32 v8, vcc, v8, v12
	s_nop 1
	v_subb_co_u32_e64 v12, s[4:5], v13, v14, vcc
	v_subrev_co_u32_e64 v13, s[4:5], s10, v8
	v_subb_co_u32_e32 v9, vcc, v9, v16, vcc
	s_nop 0
	v_subbrev_co_u32_e64 v12, s[4:5], 0, v12, s[4:5]
	v_cmp_le_u32_e64 s[4:5], s11, v12
	v_cmp_le_u32_e32 vcc, s11, v9
	s_nop 0
	v_cndmask_b32_e64 v14, 0, -1, s[4:5]
	v_cmp_le_u32_e64 s[4:5], s10, v13
	s_nop 1
	v_cndmask_b32_e64 v13, 0, -1, s[4:5]
	v_cmp_eq_u32_e64 s[4:5], s11, v12
	s_nop 1
	v_cndmask_b32_e64 v17, v14, v13, s[4:5]
	v_lshl_add_u64 v[12:13], v[6:7], 0, 2
	v_lshl_add_u64 v[14:15], v[6:7], 0, 1
	v_cmp_ne_u32_e64 s[4:5], 0, v17
	s_nop 1
	v_cndmask_b32_e64 v13, v15, v13, s[4:5]
	v_cndmask_b32_e64 v15, 0, -1, vcc
	v_cmp_le_u32_e32 vcc, s10, v8
	s_nop 1
	v_cndmask_b32_e64 v8, 0, -1, vcc
	v_cmp_eq_u32_e32 vcc, s11, v9
	s_nop 1
	v_cndmask_b32_e32 v8, v15, v8, vcc
	v_cmp_ne_u32_e32 vcc, 0, v8
	v_cndmask_b32_e64 v8, v14, v12, s[4:5]
	s_nop 0
	v_cndmask_b32_e32 v7, v7, v13, vcc
	v_cndmask_b32_e32 v6, v6, v8, vcc
                                        ; implicit-def: $vgpr8
.LBB44_3:
	s_or_saveexec_b64 s[4:5], s[12:13]
	s_load_dwordx4 s[12:15], s[0:1], 0x0
	s_xor_b64 exec, exec, s[4:5]
	s_cbranch_execz .LBB44_5
; %bb.4:
	v_cvt_f32_u32_e32 v6, s10
	s_sub_i32 s16, 0, s10
	v_rcp_iflag_f32_e32 v6, v6
	s_nop 0
	v_mul_f32_e32 v6, 0x4f7ffffe, v6
	v_cvt_u32_f32_e32 v6, v6
	v_mul_lo_u32 v7, s16, v6
	v_mul_hi_u32 v7, v6, v7
	v_add_u32_e32 v6, v6, v7
	v_mul_hi_u32 v6, v8, v6
	v_mul_lo_u32 v7, v6, s10
	v_sub_u32_e32 v7, v8, v7
	v_add_u32_e32 v9, 1, v6
	v_subrev_u32_e32 v8, s10, v7
	v_cmp_le_u32_e32 vcc, s10, v7
	s_nop 1
	v_cndmask_b32_e32 v7, v7, v8, vcc
	v_cndmask_b32_e32 v6, v6, v9, vcc
	v_add_u32_e32 v8, 1, v6
	v_cmp_le_u32_e32 vcc, s10, v7
	v_mov_b32_e32 v7, 0
	s_nop 0
	v_cndmask_b32_e32 v6, v6, v8, vcc
.LBB44_5:
	s_or_b64 exec, exec, s[4:5]
	s_load_dwordx4 s[16:19], s[0:1], 0x10
	v_lshl_add_u64 v[4:5], v[6:7], 0, v[4:5]
	v_lshl_add_u64 v[20:21], v[4:5], 0, 1
	s_mov_b64 s[0:1], 0
	v_cmp_lt_u64_e32 vcc, 3, v[20:21]
	s_waitcnt lgkmcnt(0)
	s_lshl_b64 s[4:5], s[16:17], 1
	s_add_u32 s20, s4, -2
	s_addc_u32 s21, s5, -1
	v_cmp_lt_i64_e64 s[26:27], s[20:21], 1
	v_cmp_gt_i64_e64 s[22:23], s[20:21], 0
                                        ; implicit-def: $vgpr4_vgpr5
                                        ; implicit-def: $vgpr6_vgpr7
	s_and_saveexec_b64 s[4:5], vcc
	s_xor_b64 s[24:25], exec, s[4:5]
	s_cbranch_execnz .LBB44_8
; %bb.6:
	s_andn2_saveexec_b64 s[2:3], s[24:25]
	s_cbranch_execnz .LBB44_51
.LBB44_7:
	s_or_b64 exec, exec, s[2:3]
	s_and_b64 exec, exec, s[0:1]
	s_cbranch_execnz .LBB44_52
	s_branch .LBB44_64
.LBB44_8:
	v_mad_u64_u32 v[8:9], s[0:1], s10, 3, v[2:3]
	v_mov_b32_e32 v12, v9
	s_xor_b64 s[28:29], s[26:27], -1
	v_mad_u64_u32 v[6:7], s[0:1], s10, 2, v[2:3]
	v_mad_u64_u32 v[4:5], s[0:1], s10, 1, v[2:3]
	v_mad_u64_u32 v[12:13], s[0:1], s11, 3, v[12:13]
	s_lshl_b64 s[42:43], s[10:11], 2
	s_sub_u32 s40, 0, s8
	s_mul_i32 s0, s11, 6
	s_mul_hi_u32 s1, s10, 6
	s_subb_u32 s41, 0, s9
	s_add_i32 s55, s1, s0
	s_lshl_b64 s[56:57], s[10:11], 3
	s_lshl_b64 s[52:53], s[10:11], 1
	;; [unrolled: 1-line block ×3, first 2 shown]
	s_add_u32 s0, s0, s2
	v_mov_b32_e32 v9, v12
	v_mov_b32_e32 v12, s19
	v_subrev_co_u32_e32 v24, vcc, s18, v2
	s_addc_u32 s1, s1, 0
	v_mov_b32_e32 v14, s3
	v_subb_co_u32_e32 v25, vcc, v3, v12, vcc
	s_mul_i32 s4, s1, s3
	v_mad_u64_u32 v[12:13], s[0:1], s0, v14, v[0:1]
	s_mul_i32 s1, s58, 3
	s_mul_hi_u32 s0, s58, 3
	s_add_u32 s1, s1, s2
	v_add_u32_e32 v13, s4, v13
	v_mov_b32_e32 v15, s19
	v_subrev_co_u32_e32 v28, vcc, s18, v12
	s_addc_u32 s0, s0, 0
	s_nop 0
	v_subb_co_u32_e32 v29, vcc, v13, v15, vcc
	s_mul_i32 s2, s0, s3
	v_mad_u64_u32 v[0:1], s[0:1], s1, v14, v[0:1]
	v_add_u32_e32 v1, s2, v1
	v_mov_b32_e32 v12, s19
	v_subrev_co_u32_e32 v0, vcc, s18, v0
	v_lshl_add_u32 v7, s11, 1, v7
	s_nop 0
	v_subb_co_u32_e32 v1, vcc, v1, v12, vcc
	v_add_u32_e32 v5, s11, v5
	v_subrev_co_u32_e32 v30, vcc, s18, v10
	v_and_b32_e32 v22, -4, v20
	v_mov_b32_e32 v23, v21
	v_subb_co_u32_e32 v31, vcc, v11, v12, vcc
	v_mov_b64_e32 v[10:11], v[8:9]
	s_mov_b32 s33, s20
	s_mov_b32 s62, s21
	;; [unrolled: 1-line block ×20, first 2 shown]
	s_mov_b64 s[50:51], 0
	s_mul_i32 s54, s10, 6
	v_lshl_add_u64 v[26:27], v[2:3], 1, s[14:15]
	v_mov_b32_e32 v32, 0
	v_mov_b64_e32 v[34:35], v[22:23]
	v_mov_b64_e32 v[8:9], v[6:7]
	;; [unrolled: 1-line block ×4, first 2 shown]
	s_branch .LBB44_11
.LBB44_9:                               ;   in Loop: Header=BB44_11 Depth=1
	s_or_b64 exec, exec, s[0:1]
.LBB44_10:                              ;   in Loop: Header=BB44_11 Depth=1
	v_ashrrev_i32_e32 v33, 31, v19
	v_and_b32_e32 v45, s66, v33
	v_and_b32_e32 v44, s65, v33
	v_ashrrev_i32_e32 v33, 31, v17
	v_and_b32_e32 v47, s64, v33
	v_and_b32_e32 v46, s63, v33
	;; [unrolled: 3-line block ×3, first 2 shown]
	v_ashrrev_i32_e32 v33, 31, v13
	v_lshl_add_u64 v[18:19], v[44:45], 0, v[18:19]
	v_and_b32_e32 v51, s21, v33
	v_and_b32_e32 v50, s20, v33
	v_mov_b32_e32 v33, s66
	v_sub_co_u32_e32 v44, vcc, s65, v18
	v_lshl_add_u64 v[16:17], v[46:47], 0, v[16:17]
	s_nop 0
	v_subb_co_u32_e32 v33, vcc, v33, v19, vcc
	v_mov_b32_e32 v45, s64
	v_sub_co_u32_e32 v46, vcc, s63, v16
	v_lshl_add_u64 v[14:15], v[48:49], 0, v[14:15]
	s_nop 0
	v_subb_co_u32_e32 v45, vcc, v45, v17, vcc
	;; [unrolled: 5-line block ×3, first 2 shown]
	v_mov_b32_e32 v49, s21
	v_sub_co_u32_e32 v50, vcc, s20, v12
	v_lshl_add_u64 v[34:35], v[34:35], 0, -4
	s_nop 0
	v_subb_co_u32_e32 v49, vcc, v49, v13, vcc
	v_cmp_gt_i64_e32 vcc, s[30:31], v[12:13]
	v_lshl_add_u64 v[10:11], v[10:11], 0, s[48:49]
	v_lshl_add_u64 v[8:9], v[8:9], 0, s[46:47]
	v_cndmask_b32_e32 v50, v50, v12, vcc
	v_cndmask_b32_e32 v49, v49, v13, vcc
	v_cmp_gt_i64_e32 vcc, s[34:35], v[14:15]
	v_lshl_add_u64 v[6:7], v[6:7], 0, s[44:45]
	v_lshl_add_u64 v[4:5], v[4:5], 0, s[42:43]
	v_cndmask_b32_e32 v48, v48, v14, vcc
	v_cndmask_b32_e32 v47, v47, v15, vcc
	;; [unrolled: 5-line block ×3, first 2 shown]
	v_cmp_gt_i64_e32 vcc, s[38:39], v[18:19]
	v_cndmask_b32_e64 v15, v15, 0, s[26:27]
	v_cndmask_b32_e64 v14, v14, 0, s[26:27]
	v_cndmask_b32_e32 v12, v44, v18, vcc
	v_cndmask_b32_e32 v13, v33, v19, vcc
	v_mul_lo_u32 v33, v43, s38
	v_mul_lo_u32 v44, v42, s39
	v_mad_u64_u32 v[42:43], s[0:1], v42, s38, 0
	v_add3_u32 v43, v43, v44, v33
	v_mul_lo_u32 v33, v41, s36
	v_mul_lo_u32 v44, v40, s37
	v_mad_u64_u32 v[40:41], s[0:1], v40, s36, 0
	v_add3_u32 v41, v41, v44, v33
	;; [unrolled: 4-line block ×4, first 2 shown]
	v_cndmask_b32_e64 v19, v49, 0, s[26:27]
	v_cndmask_b32_e64 v18, v50, 0, s[26:27]
	v_lshl_add_u64 v[36:37], v[36:37], 1, s[12:13]
	v_cndmask_b32_e64 v13, v13, 0, s[26:27]
	v_cndmask_b32_e64 v12, v12, 0, s[26:27]
	v_cndmask_b32_e64 v17, v47, 0, s[26:27]
	v_cndmask_b32_e64 v16, v48, 0, s[26:27]
	v_lshl_add_u64 v[38:39], v[38:39], 1, s[12:13]
	v_lshl_add_u64 v[40:41], v[40:41], 1, s[12:13]
	v_lshl_add_u64 v[42:43], v[42:43], 1, s[12:13]
	v_lshl_add_u64 v[18:19], v[18:19], 1, v[36:37]
	v_lshl_add_u64 v[16:17], v[16:17], 1, v[38:39]
	v_lshl_add_u64 v[14:15], v[14:15], 1, v[40:41]
	v_lshl_add_u64 v[12:13], v[12:13], 1, v[42:43]
	global_load_ushort v18, v[18:19], off
	s_nop 0
	global_load_ushort v19, v[16:17], off
	global_load_ushort v33, v[14:15], off
	;; [unrolled: 1-line block ×3, first 2 shown]
	v_cmp_eq_u64_e32 vcc, 0, v[34:35]
	v_lshl_add_u64 v[12:13], v[26:27], 0, s[52:53]
	v_lshl_add_u64 v[14:15], v[26:27], 0, s[42:43]
	;; [unrolled: 1-line block ×4, first 2 shown]
	s_or_b64 s[50:51], vcc, s[50:51]
	v_lshl_add_u64 v[30:31], v[30:31], 0, s[42:43]
	s_waitcnt vmcnt(3)
	global_store_short v[26:27], v18, off
	s_waitcnt vmcnt(3)
	global_store_short v[12:13], v19, off
	;; [unrolled: 2-line block ×4, first 2 shown]
	v_lshl_add_u64 v[26:27], v[26:27], 0, s[56:57]
	s_andn2_b64 exec, exec, s[50:51]
	s_cbranch_execz .LBB44_50
.LBB44_11:                              ; =>This Inner Loop Header: Depth=1
	v_or_b32_e32 v33, s9, v5
	v_cmp_ne_u64_e32 vcc, 0, v[32:33]
                                        ; implicit-def: $vgpr36_vgpr37
	s_and_saveexec_b64 s[0:1], vcc
	s_xor_b64 s[2:3], exec, s[0:1]
	s_cbranch_execz .LBB44_13
; %bb.12:                               ;   in Loop: Header=BB44_11 Depth=1
	s_ashr_i32 s4, s9, 31
	s_add_u32 s0, s8, s4
	s_mov_b32 s5, s4
	s_addc_u32 s1, s9, s4
	s_xor_b64 s[58:59], s[0:1], s[4:5]
	v_cvt_f32_u32_e32 v12, s58
	v_cvt_f32_u32_e32 v13, s59
	s_sub_u32 s5, 0, s58
	s_subb_u32 s60, 0, s59
	v_mov_b32_e32 v17, v32
	v_fmac_f32_e32 v12, 0x4f800000, v13
	v_rcp_f32_e32 v12, v12
	s_nop 0
	v_mul_f32_e32 v12, 0x5f7ffffc, v12
	v_mul_f32_e32 v13, 0x2f800000, v12
	v_trunc_f32_e32 v13, v13
	v_fmac_f32_e32 v12, 0xcf800000, v13
	v_cvt_u32_f32_e32 v13, v13
	v_cvt_u32_f32_e32 v12, v12
	v_readfirstlane_b32 s61, v13
	v_readfirstlane_b32 s0, v12
	s_mul_i32 s1, s5, s61
	s_mul_hi_u32 s68, s5, s0
	s_mul_i32 s67, s60, s0
	s_add_i32 s1, s68, s1
	s_add_i32 s1, s1, s67
	s_mul_i32 s69, s5, s0
	s_mul_i32 s68, s0, s1
	s_mul_hi_u32 s70, s0, s69
	s_mul_hi_u32 s67, s0, s1
	s_add_u32 s68, s70, s68
	s_addc_u32 s67, 0, s67
	s_mul_hi_u32 s71, s61, s69
	s_mul_i32 s69, s61, s69
	s_add_u32 s68, s68, s69
	s_mul_hi_u32 s70, s61, s1
	s_addc_u32 s67, s67, s71
	s_addc_u32 s68, s70, 0
	s_mul_i32 s1, s61, s1
	s_add_u32 s1, s67, s1
	s_addc_u32 s67, 0, s68
	s_add_u32 s68, s0, s1
	s_cselect_b64 s[0:1], -1, 0
	s_cmp_lg_u64 s[0:1], 0
	s_addc_u32 s61, s61, s67
	s_mul_i32 s0, s5, s61
	s_mul_hi_u32 s1, s5, s68
	s_add_i32 s0, s1, s0
	s_mul_i32 s60, s60, s68
	s_add_i32 s0, s0, s60
	s_mul_i32 s5, s5, s68
	s_mul_hi_u32 s60, s61, s5
	s_mul_i32 s67, s61, s5
	s_mul_i32 s70, s68, s0
	s_mul_hi_u32 s5, s68, s5
	s_mul_hi_u32 s69, s68, s0
	s_add_u32 s5, s5, s70
	s_addc_u32 s69, 0, s69
	s_add_u32 s5, s5, s67
	s_mul_hi_u32 s1, s61, s0
	s_addc_u32 s5, s69, s60
	s_addc_u32 s1, s1, 0
	s_mul_i32 s0, s61, s0
	s_add_u32 s0, s5, s0
	s_addc_u32 s5, 0, s1
	s_add_u32 s60, s68, s0
	v_ashrrev_i32_e32 v12, 31, v5
	s_cselect_b64 s[0:1], -1, 0
	v_mov_b32_e32 v13, v12
	s_cmp_lg_u64 s[0:1], 0
	v_lshl_add_u64 v[14:15], v[4:5], 0, v[12:13]
	s_addc_u32 s5, s61, s5
	v_xor_b32_e32 v33, v14, v12
	v_xor_b32_e32 v13, v15, v12
	v_mad_u64_u32 v[14:15], s[0:1], v33, s5, 0
	v_mul_hi_u32 v16, v33, s60
	v_lshl_add_u64 v[14:15], v[16:17], 0, v[14:15]
	v_mad_u64_u32 v[18:19], s[0:1], v13, s60, 0
	v_add_co_u32_e32 v14, vcc, v14, v18
	v_mad_u64_u32 v[16:17], s[0:1], v13, s5, 0
	s_nop 0
	v_addc_co_u32_e32 v14, vcc, v15, v19, vcc
	v_mov_b32_e32 v15, v32
	s_nop 0
	v_addc_co_u32_e32 v17, vcc, 0, v17, vcc
	v_lshl_add_u64 v[14:15], v[14:15], 0, v[16:17]
	v_mul_lo_u32 v18, s59, v14
	v_mul_lo_u32 v19, s58, v15
	v_mad_u64_u32 v[16:17], s[0:1], s58, v14, 0
	v_add3_u32 v36, v17, v19, v18
	v_sub_u32_e32 v17, v13, v36
	v_mov_b32_e32 v18, s59
	v_sub_co_u32_e32 v33, vcc, v33, v16
	v_xor_b32_e32 v12, s4, v12
	s_nop 0
	v_subb_co_u32_e64 v16, s[0:1], v17, v18, vcc
	v_subrev_co_u32_e64 v17, s[0:1], s58, v33
	v_subb_co_u32_e32 v13, vcc, v13, v36, vcc
	s_nop 0
	v_subbrev_co_u32_e64 v16, s[0:1], 0, v16, s[0:1]
	v_cmp_le_u32_e64 s[0:1], s59, v16
	v_cmp_le_u32_e32 vcc, s59, v13
	s_nop 0
	v_cndmask_b32_e64 v18, 0, -1, s[0:1]
	v_cmp_le_u32_e64 s[0:1], s58, v17
	s_nop 1
	v_cndmask_b32_e64 v17, 0, -1, s[0:1]
	v_cmp_eq_u32_e64 s[0:1], s59, v16
	s_nop 1
	v_cndmask_b32_e64 v37, v18, v17, s[0:1]
	v_lshl_add_u64 v[16:17], v[14:15], 0, 2
	v_lshl_add_u64 v[18:19], v[14:15], 0, 1
	v_cmp_ne_u32_e64 s[0:1], 0, v37
	s_nop 1
	v_cndmask_b32_e64 v17, v19, v17, s[0:1]
	v_cndmask_b32_e64 v19, 0, -1, vcc
	v_cmp_le_u32_e32 vcc, s58, v33
	s_nop 1
	v_cndmask_b32_e64 v33, 0, -1, vcc
	v_cmp_eq_u32_e32 vcc, s59, v13
	s_nop 1
	v_cndmask_b32_e32 v13, v19, v33, vcc
	v_cmp_ne_u32_e32 vcc, 0, v13
	s_nop 1
	v_cndmask_b32_e32 v13, v15, v17, vcc
	v_cndmask_b32_e64 v15, v18, v16, s[0:1]
	v_cndmask_b32_e32 v14, v14, v15, vcc
	v_xor_b32_e32 v14, v14, v12
	v_xor_b32_e32 v13, v13, v12
	v_sub_co_u32_e32 v36, vcc, v14, v12
	s_nop 1
	v_subb_co_u32_e32 v37, vcc, v13, v12, vcc
.LBB44_13:                              ;   in Loop: Header=BB44_11 Depth=1
	s_or_saveexec_b64 s[0:1], s[2:3]
	v_cvt_f32_u32_e32 v12, s8
	v_rcp_iflag_f32_e32 v12, v12
	s_xor_b64 exec, exec, s[0:1]
	s_cbranch_execz .LBB44_15
; %bb.14:                               ;   in Loop: Header=BB44_11 Depth=1
	v_mul_f32_e32 v13, 0x4f7ffffe, v12
	v_cvt_u32_f32_e32 v13, v13
	s_sub_i32 s2, 0, s8
	v_mov_b32_e32 v37, v32
	v_mul_lo_u32 v14, s2, v13
	v_mul_hi_u32 v14, v13, v14
	v_add_u32_e32 v13, v13, v14
	v_mul_hi_u32 v13, v4, v13
	v_mul_lo_u32 v14, v13, s8
	v_sub_u32_e32 v14, v4, v14
	v_add_u32_e32 v15, 1, v13
	v_subrev_u32_e32 v16, s8, v14
	v_cmp_le_u32_e32 vcc, s8, v14
	s_nop 1
	v_cndmask_b32_e32 v14, v14, v16, vcc
	v_cndmask_b32_e32 v13, v13, v15, vcc
	v_add_u32_e32 v15, 1, v13
	v_cmp_le_u32_e32 vcc, s8, v14
	s_nop 1
	v_cndmask_b32_e32 v36, v13, v15, vcc
.LBB44_15:                              ;   in Loop: Header=BB44_11 Depth=1
	s_or_b64 exec, exec, s[0:1]
	v_or_b32_e32 v33, s9, v7
	v_cmp_ne_u64_e32 vcc, 0, v[32:33]
                                        ; implicit-def: $vgpr38_vgpr39
	s_and_saveexec_b64 s[0:1], vcc
	s_xor_b64 s[2:3], exec, s[0:1]
	s_cbranch_execz .LBB44_17
; %bb.16:                               ;   in Loop: Header=BB44_11 Depth=1
	s_ashr_i32 s4, s9, 31
	s_add_u32 s0, s8, s4
	s_mov_b32 s5, s4
	s_addc_u32 s1, s9, s4
	s_xor_b64 s[58:59], s[0:1], s[4:5]
	v_cvt_f32_u32_e32 v13, s58
	v_cvt_f32_u32_e32 v14, s59
	s_sub_u32 s5, 0, s58
	s_subb_u32 s60, 0, s59
	v_mov_b32_e32 v19, v32
	v_fmac_f32_e32 v13, 0x4f800000, v14
	v_rcp_f32_e32 v13, v13
	s_nop 0
	v_mul_f32_e32 v13, 0x5f7ffffc, v13
	v_mul_f32_e32 v14, 0x2f800000, v13
	v_trunc_f32_e32 v14, v14
	v_fmac_f32_e32 v13, 0xcf800000, v14
	v_cvt_u32_f32_e32 v14, v14
	v_cvt_u32_f32_e32 v13, v13
	v_readfirstlane_b32 s61, v14
	v_readfirstlane_b32 s0, v13
	s_mul_i32 s1, s5, s61
	s_mul_hi_u32 s68, s5, s0
	s_mul_i32 s67, s60, s0
	s_add_i32 s1, s68, s1
	s_add_i32 s1, s1, s67
	s_mul_i32 s69, s5, s0
	s_mul_i32 s68, s0, s1
	s_mul_hi_u32 s70, s0, s69
	s_mul_hi_u32 s67, s0, s1
	s_add_u32 s68, s70, s68
	s_addc_u32 s67, 0, s67
	s_mul_hi_u32 s71, s61, s69
	s_mul_i32 s69, s61, s69
	s_add_u32 s68, s68, s69
	s_mul_hi_u32 s70, s61, s1
	s_addc_u32 s67, s67, s71
	s_addc_u32 s68, s70, 0
	s_mul_i32 s1, s61, s1
	s_add_u32 s1, s67, s1
	s_addc_u32 s67, 0, s68
	s_add_u32 s68, s0, s1
	s_cselect_b64 s[0:1], -1, 0
	s_cmp_lg_u64 s[0:1], 0
	s_addc_u32 s61, s61, s67
	s_mul_i32 s0, s5, s61
	s_mul_hi_u32 s1, s5, s68
	s_add_i32 s0, s1, s0
	s_mul_i32 s60, s60, s68
	s_add_i32 s0, s0, s60
	s_mul_i32 s5, s5, s68
	s_mul_hi_u32 s60, s61, s5
	s_mul_i32 s67, s61, s5
	s_mul_i32 s70, s68, s0
	s_mul_hi_u32 s5, s68, s5
	s_mul_hi_u32 s69, s68, s0
	s_add_u32 s5, s5, s70
	s_addc_u32 s69, 0, s69
	s_add_u32 s5, s5, s67
	s_mul_hi_u32 s1, s61, s0
	s_addc_u32 s5, s69, s60
	s_addc_u32 s1, s1, 0
	s_mul_i32 s0, s61, s0
	s_add_u32 s0, s5, s0
	s_addc_u32 s5, 0, s1
	s_add_u32 s60, s68, s0
	v_ashrrev_i32_e32 v14, 31, v7
	s_cselect_b64 s[0:1], -1, 0
	v_mov_b32_e32 v15, v14
	s_cmp_lg_u64 s[0:1], 0
	v_lshl_add_u64 v[16:17], v[6:7], 0, v[14:15]
	s_addc_u32 s5, s61, s5
	v_xor_b32_e32 v15, v16, v14
	v_xor_b32_e32 v13, v17, v14
	v_mad_u64_u32 v[16:17], s[0:1], v15, s5, 0
	v_mul_hi_u32 v18, v15, s60
	v_lshl_add_u64 v[16:17], v[18:19], 0, v[16:17]
	v_mad_u64_u32 v[38:39], s[0:1], v13, s60, 0
	v_add_co_u32_e32 v16, vcc, v16, v38
	v_mad_u64_u32 v[18:19], s[0:1], v13, s5, 0
	s_nop 0
	v_addc_co_u32_e32 v16, vcc, v17, v39, vcc
	v_mov_b32_e32 v17, v32
	s_nop 0
	v_addc_co_u32_e32 v19, vcc, 0, v19, vcc
	v_lshl_add_u64 v[16:17], v[16:17], 0, v[18:19]
	v_mul_lo_u32 v33, s59, v16
	v_mul_lo_u32 v38, s58, v17
	v_mad_u64_u32 v[18:19], s[0:1], s58, v16, 0
	v_add3_u32 v33, v19, v38, v33
	v_sub_u32_e32 v19, v13, v33
	v_mov_b32_e32 v38, s59
	v_sub_co_u32_e32 v15, vcc, v15, v18
	v_xor_b32_e32 v14, s4, v14
	s_nop 0
	v_subb_co_u32_e64 v18, s[0:1], v19, v38, vcc
	v_subrev_co_u32_e64 v19, s[0:1], s58, v15
	v_subb_co_u32_e32 v13, vcc, v13, v33, vcc
	s_nop 0
	v_subbrev_co_u32_e64 v18, s[0:1], 0, v18, s[0:1]
	v_cmp_le_u32_e64 s[0:1], s59, v18
	v_cmp_le_u32_e32 vcc, s59, v13
	s_nop 0
	v_cndmask_b32_e64 v38, 0, -1, s[0:1]
	v_cmp_le_u32_e64 s[0:1], s58, v19
	v_cndmask_b32_e64 v33, 0, -1, vcc
	v_cmp_le_u32_e32 vcc, s58, v15
	v_cndmask_b32_e64 v19, 0, -1, s[0:1]
	v_cmp_eq_u32_e64 s[0:1], s59, v18
	v_cndmask_b32_e64 v15, 0, -1, vcc
	v_cmp_eq_u32_e32 vcc, s59, v13
	v_cndmask_b32_e64 v40, v38, v19, s[0:1]
	v_lshl_add_u64 v[18:19], v[16:17], 0, 2
	v_lshl_add_u64 v[38:39], v[16:17], 0, 1
	v_cmp_ne_u32_e64 s[0:1], 0, v40
	v_cndmask_b32_e32 v13, v33, v15, vcc
	v_cmp_ne_u32_e32 vcc, 0, v13
	v_cndmask_b32_e64 v15, v38, v18, s[0:1]
	v_cndmask_b32_e64 v19, v39, v19, s[0:1]
	v_cndmask_b32_e32 v15, v16, v15, vcc
	v_cndmask_b32_e32 v13, v17, v19, vcc
	v_xor_b32_e32 v15, v15, v14
	v_xor_b32_e32 v13, v13, v14
	v_sub_co_u32_e32 v38, vcc, v15, v14
	s_nop 1
	v_subb_co_u32_e32 v39, vcc, v13, v14, vcc
.LBB44_17:                              ;   in Loop: Header=BB44_11 Depth=1
	s_andn2_saveexec_b64 s[0:1], s[2:3]
	s_cbranch_execz .LBB44_19
; %bb.18:                               ;   in Loop: Header=BB44_11 Depth=1
	v_mul_f32_e32 v13, 0x4f7ffffe, v12
	v_cvt_u32_f32_e32 v13, v13
	s_sub_i32 s2, 0, s8
	v_mov_b32_e32 v39, v32
	v_mul_lo_u32 v14, s2, v13
	v_mul_hi_u32 v14, v13, v14
	v_add_u32_e32 v13, v13, v14
	v_mul_hi_u32 v13, v6, v13
	v_mul_lo_u32 v14, v13, s8
	v_sub_u32_e32 v14, v6, v14
	v_add_u32_e32 v15, 1, v13
	v_subrev_u32_e32 v16, s8, v14
	v_cmp_le_u32_e32 vcc, s8, v14
	s_nop 1
	v_cndmask_b32_e32 v14, v14, v16, vcc
	v_cndmask_b32_e32 v13, v13, v15, vcc
	v_add_u32_e32 v15, 1, v13
	v_cmp_le_u32_e32 vcc, s8, v14
	s_nop 1
	v_cndmask_b32_e32 v38, v13, v15, vcc
.LBB44_19:                              ;   in Loop: Header=BB44_11 Depth=1
	s_or_b64 exec, exec, s[0:1]
	v_or_b32_e32 v33, s9, v9
	v_cmp_ne_u64_e32 vcc, 0, v[32:33]
                                        ; implicit-def: $vgpr40_vgpr41
	s_and_saveexec_b64 s[0:1], vcc
	s_xor_b64 s[2:3], exec, s[0:1]
	s_cbranch_execz .LBB44_21
; %bb.20:                               ;   in Loop: Header=BB44_11 Depth=1
	s_ashr_i32 s4, s9, 31
	s_add_u32 s0, s8, s4
	s_mov_b32 s5, s4
	s_addc_u32 s1, s9, s4
	s_xor_b64 s[58:59], s[0:1], s[4:5]
	v_cvt_f32_u32_e32 v13, s58
	v_cvt_f32_u32_e32 v14, s59
	s_sub_u32 s5, 0, s58
	s_subb_u32 s60, 0, s59
	v_mov_b32_e32 v19, v32
	v_fmac_f32_e32 v13, 0x4f800000, v14
	v_rcp_f32_e32 v13, v13
	s_nop 0
	v_mul_f32_e32 v13, 0x5f7ffffc, v13
	v_mul_f32_e32 v14, 0x2f800000, v13
	v_trunc_f32_e32 v14, v14
	v_fmac_f32_e32 v13, 0xcf800000, v14
	v_cvt_u32_f32_e32 v14, v14
	v_cvt_u32_f32_e32 v13, v13
	v_readfirstlane_b32 s61, v14
	v_readfirstlane_b32 s0, v13
	s_mul_i32 s1, s5, s61
	s_mul_hi_u32 s68, s5, s0
	s_mul_i32 s67, s60, s0
	s_add_i32 s1, s68, s1
	s_add_i32 s1, s1, s67
	s_mul_i32 s69, s5, s0
	s_mul_i32 s68, s0, s1
	s_mul_hi_u32 s70, s0, s69
	s_mul_hi_u32 s67, s0, s1
	s_add_u32 s68, s70, s68
	s_addc_u32 s67, 0, s67
	s_mul_hi_u32 s71, s61, s69
	s_mul_i32 s69, s61, s69
	s_add_u32 s68, s68, s69
	s_mul_hi_u32 s70, s61, s1
	s_addc_u32 s67, s67, s71
	s_addc_u32 s68, s70, 0
	s_mul_i32 s1, s61, s1
	s_add_u32 s1, s67, s1
	s_addc_u32 s67, 0, s68
	s_add_u32 s68, s0, s1
	s_cselect_b64 s[0:1], -1, 0
	s_cmp_lg_u64 s[0:1], 0
	s_addc_u32 s61, s61, s67
	s_mul_i32 s0, s5, s61
	s_mul_hi_u32 s1, s5, s68
	s_add_i32 s0, s1, s0
	s_mul_i32 s60, s60, s68
	s_add_i32 s0, s0, s60
	s_mul_i32 s5, s5, s68
	s_mul_hi_u32 s60, s61, s5
	s_mul_i32 s67, s61, s5
	s_mul_i32 s70, s68, s0
	s_mul_hi_u32 s5, s68, s5
	s_mul_hi_u32 s69, s68, s0
	s_add_u32 s5, s5, s70
	s_addc_u32 s69, 0, s69
	s_add_u32 s5, s5, s67
	s_mul_hi_u32 s1, s61, s0
	s_addc_u32 s5, s69, s60
	s_addc_u32 s1, s1, 0
	s_mul_i32 s0, s61, s0
	s_add_u32 s0, s5, s0
	s_addc_u32 s5, 0, s1
	s_add_u32 s60, s68, s0
	v_ashrrev_i32_e32 v14, 31, v9
	s_cselect_b64 s[0:1], -1, 0
	v_mov_b32_e32 v15, v14
	s_cmp_lg_u64 s[0:1], 0
	v_lshl_add_u64 v[16:17], v[8:9], 0, v[14:15]
	s_addc_u32 s5, s61, s5
	v_xor_b32_e32 v15, v16, v14
	v_xor_b32_e32 v13, v17, v14
	v_mad_u64_u32 v[16:17], s[0:1], v15, s5, 0
	v_mul_hi_u32 v18, v15, s60
	v_lshl_add_u64 v[16:17], v[18:19], 0, v[16:17]
	v_mad_u64_u32 v[40:41], s[0:1], v13, s60, 0
	v_add_co_u32_e32 v16, vcc, v16, v40
	v_mad_u64_u32 v[18:19], s[0:1], v13, s5, 0
	s_nop 0
	v_addc_co_u32_e32 v16, vcc, v17, v41, vcc
	v_mov_b32_e32 v17, v32
	s_nop 0
	v_addc_co_u32_e32 v19, vcc, 0, v19, vcc
	v_lshl_add_u64 v[16:17], v[16:17], 0, v[18:19]
	v_mul_lo_u32 v33, s59, v16
	v_mul_lo_u32 v40, s58, v17
	v_mad_u64_u32 v[18:19], s[0:1], s58, v16, 0
	v_add3_u32 v33, v19, v40, v33
	v_sub_u32_e32 v19, v13, v33
	v_mov_b32_e32 v40, s59
	v_sub_co_u32_e32 v15, vcc, v15, v18
	v_xor_b32_e32 v14, s4, v14
	s_nop 0
	v_subb_co_u32_e64 v18, s[0:1], v19, v40, vcc
	v_subrev_co_u32_e64 v19, s[0:1], s58, v15
	v_subb_co_u32_e32 v13, vcc, v13, v33, vcc
	s_nop 0
	v_subbrev_co_u32_e64 v18, s[0:1], 0, v18, s[0:1]
	v_cmp_le_u32_e64 s[0:1], s59, v18
	v_cmp_le_u32_e32 vcc, s59, v13
	s_nop 0
	v_cndmask_b32_e64 v40, 0, -1, s[0:1]
	v_cmp_le_u32_e64 s[0:1], s58, v19
	v_cndmask_b32_e64 v33, 0, -1, vcc
	v_cmp_le_u32_e32 vcc, s58, v15
	v_cndmask_b32_e64 v19, 0, -1, s[0:1]
	v_cmp_eq_u32_e64 s[0:1], s59, v18
	v_cndmask_b32_e64 v15, 0, -1, vcc
	v_cmp_eq_u32_e32 vcc, s59, v13
	v_cndmask_b32_e64 v42, v40, v19, s[0:1]
	v_lshl_add_u64 v[18:19], v[16:17], 0, 2
	v_lshl_add_u64 v[40:41], v[16:17], 0, 1
	v_cmp_ne_u32_e64 s[0:1], 0, v42
	v_cndmask_b32_e32 v13, v33, v15, vcc
	v_cmp_ne_u32_e32 vcc, 0, v13
	v_cndmask_b32_e64 v15, v40, v18, s[0:1]
	v_cndmask_b32_e64 v19, v41, v19, s[0:1]
	v_cndmask_b32_e32 v15, v16, v15, vcc
	v_cndmask_b32_e32 v13, v17, v19, vcc
	v_xor_b32_e32 v15, v15, v14
	v_xor_b32_e32 v13, v13, v14
	v_sub_co_u32_e32 v40, vcc, v15, v14
	s_nop 1
	v_subb_co_u32_e32 v41, vcc, v13, v14, vcc
.LBB44_21:                              ;   in Loop: Header=BB44_11 Depth=1
	s_andn2_saveexec_b64 s[0:1], s[2:3]
	s_cbranch_execz .LBB44_23
; %bb.22:                               ;   in Loop: Header=BB44_11 Depth=1
	v_mul_f32_e32 v13, 0x4f7ffffe, v12
	v_cvt_u32_f32_e32 v13, v13
	s_sub_i32 s2, 0, s8
	v_mov_b32_e32 v41, v32
	v_mul_lo_u32 v14, s2, v13
	v_mul_hi_u32 v14, v13, v14
	v_add_u32_e32 v13, v13, v14
	v_mul_hi_u32 v13, v8, v13
	v_mul_lo_u32 v14, v13, s8
	v_sub_u32_e32 v14, v8, v14
	v_add_u32_e32 v15, 1, v13
	v_subrev_u32_e32 v16, s8, v14
	v_cmp_le_u32_e32 vcc, s8, v14
	s_nop 1
	v_cndmask_b32_e32 v14, v14, v16, vcc
	v_cndmask_b32_e32 v13, v13, v15, vcc
	v_add_u32_e32 v15, 1, v13
	v_cmp_le_u32_e32 vcc, s8, v14
	s_nop 1
	v_cndmask_b32_e32 v40, v13, v15, vcc
.LBB44_23:                              ;   in Loop: Header=BB44_11 Depth=1
	s_or_b64 exec, exec, s[0:1]
	v_or_b32_e32 v33, s9, v11
	v_cmp_ne_u64_e32 vcc, 0, v[32:33]
                                        ; implicit-def: $vgpr42_vgpr43
	s_and_saveexec_b64 s[0:1], vcc
	s_xor_b64 s[2:3], exec, s[0:1]
	s_cbranch_execz .LBB44_25
; %bb.24:                               ;   in Loop: Header=BB44_11 Depth=1
	s_ashr_i32 s4, s9, 31
	s_add_u32 s0, s8, s4
	s_mov_b32 s5, s4
	s_addc_u32 s1, s9, s4
	s_xor_b64 s[58:59], s[0:1], s[4:5]
	v_cvt_f32_u32_e32 v12, s58
	v_cvt_f32_u32_e32 v13, s59
	s_sub_u32 s5, 0, s58
	s_subb_u32 s60, 0, s59
	v_mov_b32_e32 v17, v32
	v_fmac_f32_e32 v12, 0x4f800000, v13
	v_rcp_f32_e32 v12, v12
	s_nop 0
	v_mul_f32_e32 v12, 0x5f7ffffc, v12
	v_mul_f32_e32 v13, 0x2f800000, v12
	v_trunc_f32_e32 v13, v13
	v_fmac_f32_e32 v12, 0xcf800000, v13
	v_cvt_u32_f32_e32 v13, v13
	v_cvt_u32_f32_e32 v12, v12
	v_readfirstlane_b32 s61, v13
	v_readfirstlane_b32 s0, v12
	s_mul_i32 s1, s5, s61
	s_mul_hi_u32 s68, s5, s0
	s_mul_i32 s67, s60, s0
	s_add_i32 s1, s68, s1
	s_add_i32 s1, s1, s67
	s_mul_i32 s69, s5, s0
	s_mul_i32 s68, s0, s1
	s_mul_hi_u32 s70, s0, s69
	s_mul_hi_u32 s67, s0, s1
	s_add_u32 s68, s70, s68
	s_addc_u32 s67, 0, s67
	s_mul_hi_u32 s71, s61, s69
	s_mul_i32 s69, s61, s69
	s_add_u32 s68, s68, s69
	s_mul_hi_u32 s70, s61, s1
	s_addc_u32 s67, s67, s71
	s_addc_u32 s68, s70, 0
	s_mul_i32 s1, s61, s1
	s_add_u32 s1, s67, s1
	s_addc_u32 s67, 0, s68
	s_add_u32 s68, s0, s1
	s_cselect_b64 s[0:1], -1, 0
	s_cmp_lg_u64 s[0:1], 0
	s_addc_u32 s61, s61, s67
	s_mul_i32 s0, s5, s61
	s_mul_hi_u32 s1, s5, s68
	s_add_i32 s0, s1, s0
	s_mul_i32 s60, s60, s68
	s_add_i32 s0, s0, s60
	s_mul_i32 s5, s5, s68
	s_mul_hi_u32 s60, s61, s5
	s_mul_i32 s67, s61, s5
	s_mul_i32 s70, s68, s0
	s_mul_hi_u32 s5, s68, s5
	s_mul_hi_u32 s69, s68, s0
	s_add_u32 s5, s5, s70
	s_addc_u32 s69, 0, s69
	s_add_u32 s5, s5, s67
	s_mul_hi_u32 s1, s61, s0
	s_addc_u32 s5, s69, s60
	s_addc_u32 s1, s1, 0
	s_mul_i32 s0, s61, s0
	s_add_u32 s0, s5, s0
	s_addc_u32 s5, 0, s1
	s_add_u32 s60, s68, s0
	v_ashrrev_i32_e32 v12, 31, v11
	s_cselect_b64 s[0:1], -1, 0
	v_mov_b32_e32 v13, v12
	s_cmp_lg_u64 s[0:1], 0
	v_lshl_add_u64 v[14:15], v[10:11], 0, v[12:13]
	s_addc_u32 s5, s61, s5
	v_xor_b32_e32 v33, v14, v12
	v_xor_b32_e32 v13, v15, v12
	v_mad_u64_u32 v[14:15], s[0:1], v33, s5, 0
	v_mul_hi_u32 v16, v33, s60
	v_lshl_add_u64 v[14:15], v[16:17], 0, v[14:15]
	v_mad_u64_u32 v[18:19], s[0:1], v13, s60, 0
	v_add_co_u32_e32 v14, vcc, v14, v18
	v_mad_u64_u32 v[16:17], s[0:1], v13, s5, 0
	s_nop 0
	v_addc_co_u32_e32 v14, vcc, v15, v19, vcc
	v_mov_b32_e32 v15, v32
	s_nop 0
	v_addc_co_u32_e32 v17, vcc, 0, v17, vcc
	v_lshl_add_u64 v[14:15], v[14:15], 0, v[16:17]
	v_mul_lo_u32 v18, s59, v14
	v_mul_lo_u32 v19, s58, v15
	v_mad_u64_u32 v[16:17], s[0:1], s58, v14, 0
	v_add3_u32 v42, v17, v19, v18
	v_sub_u32_e32 v17, v13, v42
	v_mov_b32_e32 v18, s59
	v_sub_co_u32_e32 v33, vcc, v33, v16
	v_xor_b32_e32 v12, s4, v12
	s_nop 0
	v_subb_co_u32_e64 v16, s[0:1], v17, v18, vcc
	v_subrev_co_u32_e64 v17, s[0:1], s58, v33
	v_subb_co_u32_e32 v13, vcc, v13, v42, vcc
	s_nop 0
	v_subbrev_co_u32_e64 v16, s[0:1], 0, v16, s[0:1]
	v_cmp_le_u32_e64 s[0:1], s59, v16
	v_cmp_le_u32_e32 vcc, s59, v13
	s_nop 0
	v_cndmask_b32_e64 v18, 0, -1, s[0:1]
	v_cmp_le_u32_e64 s[0:1], s58, v17
	s_nop 1
	v_cndmask_b32_e64 v17, 0, -1, s[0:1]
	v_cmp_eq_u32_e64 s[0:1], s59, v16
	s_nop 1
	v_cndmask_b32_e64 v43, v18, v17, s[0:1]
	v_lshl_add_u64 v[16:17], v[14:15], 0, 2
	v_lshl_add_u64 v[18:19], v[14:15], 0, 1
	v_cmp_ne_u32_e64 s[0:1], 0, v43
	s_nop 1
	v_cndmask_b32_e64 v17, v19, v17, s[0:1]
	v_cndmask_b32_e64 v19, 0, -1, vcc
	v_cmp_le_u32_e32 vcc, s58, v33
	s_nop 1
	v_cndmask_b32_e64 v33, 0, -1, vcc
	v_cmp_eq_u32_e32 vcc, s59, v13
	s_nop 1
	v_cndmask_b32_e32 v13, v19, v33, vcc
	v_cmp_ne_u32_e32 vcc, 0, v13
	s_nop 1
	v_cndmask_b32_e32 v13, v15, v17, vcc
	v_cndmask_b32_e64 v15, v18, v16, s[0:1]
	v_cndmask_b32_e32 v14, v14, v15, vcc
	v_xor_b32_e32 v14, v14, v12
	v_xor_b32_e32 v13, v13, v12
	v_sub_co_u32_e32 v42, vcc, v14, v12
	s_nop 1
	v_subb_co_u32_e32 v43, vcc, v13, v12, vcc
                                        ; implicit-def: $vgpr12
.LBB44_25:                              ;   in Loop: Header=BB44_11 Depth=1
	s_andn2_saveexec_b64 s[0:1], s[2:3]
	s_cbranch_execz .LBB44_27
; %bb.26:                               ;   in Loop: Header=BB44_11 Depth=1
	v_mul_f32_e32 v12, 0x4f7ffffe, v12
	v_cvt_u32_f32_e32 v12, v12
	s_sub_i32 s2, 0, s8
	v_mov_b32_e32 v43, v32
	v_mul_lo_u32 v13, s2, v12
	v_mul_hi_u32 v13, v12, v13
	v_add_u32_e32 v12, v12, v13
	v_mul_hi_u32 v12, v10, v12
	v_mul_lo_u32 v13, v12, s8
	v_sub_u32_e32 v13, v10, v13
	v_add_u32_e32 v14, 1, v12
	v_subrev_u32_e32 v15, s8, v13
	v_cmp_le_u32_e32 vcc, s8, v13
	s_nop 1
	v_cndmask_b32_e32 v13, v13, v15, vcc
	v_cndmask_b32_e32 v12, v12, v14, vcc
	v_add_u32_e32 v14, 1, v12
	v_cmp_le_u32_e32 vcc, s8, v13
	s_nop 1
	v_cndmask_b32_e32 v42, v12, v14, vcc
.LBB44_27:                              ;   in Loop: Header=BB44_11 Depth=1
	s_or_b64 exec, exec, s[0:1]
	v_cndmask_b32_e64 v12, 0, 1, s[28:29]
	v_cmp_ne_u32_e64 s[0:1], 1, v12
	s_andn2_b64 vcc, exec, s[28:29]
                                        ; implicit-def: $vgpr12_vgpr13_vgpr14_vgpr15_vgpr16_vgpr17_vgpr18_vgpr19
	s_cbranch_vccz .LBB44_31
; %bb.28:                               ;   in Loop: Header=BB44_11 Depth=1
	s_and_b64 vcc, exec, s[0:1]
	s_cbranch_vccz .LBB44_36
.LBB44_29:                              ;   in Loop: Header=BB44_11 Depth=1
	s_and_b64 vcc, exec, s[0:1]
	s_cbranch_vccz .LBB44_41
.LBB44_30:                              ;   in Loop: Header=BB44_11 Depth=1
	s_and_b64 vcc, exec, s[0:1]
	s_cbranch_vccnz .LBB44_10
	s_branch .LBB44_46
.LBB44_31:                              ;   in Loop: Header=BB44_11 Depth=1
	v_mad_u64_u32 v[14:15], s[2:3], s40, v36, v[24:25]
	v_mul_lo_u32 v12, s40, v37
	v_mul_lo_u32 v13, s41, v36
	v_add3_u32 v15, v13, v15, v12
	v_or_b32_e32 v33, s21, v15
	v_cmp_ne_u64_e32 vcc, 0, v[32:33]
                                        ; implicit-def: $vgpr12_vgpr13
	s_and_saveexec_b64 s[2:3], vcc
	s_xor_b64 s[58:59], exec, s[2:3]
	s_cbranch_execz .LBB44_33
; %bb.32:                               ;   in Loop: Header=BB44_11 Depth=1
	s_ashr_i32 s2, s21, 31
	s_add_u32 s4, s20, s2
	s_mov_b32 s3, s2
	s_addc_u32 s5, s21, s2
	s_xor_b64 s[60:61], s[4:5], s[2:3]
	v_cvt_f32_u32_e32 v12, s60
	v_cvt_f32_u32_e32 v13, s61
	s_sub_u32 s4, 0, s60
	s_subb_u32 s5, 0, s61
	v_ashrrev_i32_e32 v16, 31, v15
	v_fmac_f32_e32 v12, 0x4f800000, v13
	v_rcp_f32_e32 v12, v12
	v_mov_b32_e32 v17, v16
	v_mul_f32_e32 v12, 0x5f7ffffc, v12
	v_mul_f32_e32 v13, 0x2f800000, v12
	v_trunc_f32_e32 v13, v13
	v_fmac_f32_e32 v12, 0xcf800000, v13
	v_cvt_u32_f32_e32 v13, v13
	v_cvt_u32_f32_e32 v12, v12
	v_readfirstlane_b32 s67, v13
	v_readfirstlane_b32 s2, v12
	s_mul_i32 s3, s4, s67
	s_mul_hi_u32 s69, s4, s2
	s_mul_i32 s68, s5, s2
	s_add_i32 s3, s69, s3
	s_add_i32 s3, s3, s68
	s_mul_i32 s70, s4, s2
	s_mul_i32 s69, s2, s3
	s_mul_hi_u32 s71, s2, s70
	s_mul_hi_u32 s68, s2, s3
	s_add_u32 s69, s71, s69
	s_addc_u32 s68, 0, s68
	s_mul_hi_u32 s72, s67, s70
	s_mul_i32 s70, s67, s70
	s_add_u32 s69, s69, s70
	s_mul_hi_u32 s71, s67, s3
	s_addc_u32 s68, s68, s72
	s_addc_u32 s69, s71, 0
	s_mul_i32 s3, s67, s3
	s_add_u32 s3, s68, s3
	s_addc_u32 s68, 0, s69
	s_add_u32 s69, s2, s3
	s_cselect_b64 s[2:3], -1, 0
	s_cmp_lg_u64 s[2:3], 0
	s_addc_u32 s67, s67, s68
	s_mul_i32 s2, s4, s67
	s_mul_hi_u32 s3, s4, s69
	s_add_i32 s2, s3, s2
	s_mul_i32 s5, s5, s69
	s_add_i32 s2, s2, s5
	s_mul_i32 s4, s4, s69
	s_mul_hi_u32 s5, s67, s4
	s_mul_i32 s68, s67, s4
	s_mul_i32 s71, s69, s2
	s_mul_hi_u32 s4, s69, s4
	s_mul_hi_u32 s70, s69, s2
	s_add_u32 s4, s4, s71
	s_addc_u32 s70, 0, s70
	s_add_u32 s4, s4, s68
	s_mul_hi_u32 s3, s67, s2
	s_addc_u32 s4, s70, s5
	s_addc_u32 s3, s3, 0
	s_mul_i32 s2, s67, s2
	s_add_u32 s2, s4, s2
	s_addc_u32 s4, 0, s3
	s_add_u32 s5, s69, s2
	s_cselect_b64 s[2:3], -1, 0
	s_cmp_lg_u64 s[2:3], 0
	v_lshl_add_u64 v[12:13], v[14:15], 0, v[16:17]
	s_addc_u32 s4, s67, s4
	v_xor_b32_e32 v33, v12, v16
	v_xor_b32_e32 v17, v13, v16
	v_mad_u64_u32 v[12:13], s[2:3], v33, s4, 0
	v_mul_hi_u32 v14, v33, s5
	v_mov_b32_e32 v15, v32
	v_lshl_add_u64 v[12:13], v[14:15], 0, v[12:13]
	v_mad_u64_u32 v[18:19], s[2:3], v17, s5, 0
	v_add_co_u32_e32 v12, vcc, v12, v18
	v_mad_u64_u32 v[14:15], s[2:3], v17, s4, 0
	s_nop 0
	v_addc_co_u32_e32 v12, vcc, v13, v19, vcc
	v_mov_b32_e32 v13, v32
	s_nop 0
	v_addc_co_u32_e32 v15, vcc, 0, v15, vcc
	v_lshl_add_u64 v[12:13], v[12:13], 0, v[14:15]
	v_mul_lo_u32 v14, s61, v12
	v_mul_lo_u32 v15, s60, v13
	v_mad_u64_u32 v[12:13], s[2:3], s60, v12, 0
	v_add3_u32 v13, v13, v15, v14
	v_sub_u32_e32 v14, v17, v13
	v_mov_b32_e32 v15, s61
	v_sub_co_u32_e32 v12, vcc, v33, v12
	s_nop 1
	v_subb_co_u32_e64 v14, s[2:3], v14, v15, vcc
	v_subrev_co_u32_e64 v18, s[2:3], s60, v12
	v_subb_co_u32_e32 v13, vcc, v17, v13, vcc
	s_nop 0
	v_subbrev_co_u32_e64 v19, s[4:5], 0, v14, s[2:3]
	v_cmp_le_u32_e64 s[4:5], s61, v19
	v_subb_co_u32_e64 v14, s[2:3], v14, v15, s[2:3]
	s_nop 0
	v_cndmask_b32_e64 v33, 0, -1, s[4:5]
	v_cmp_le_u32_e64 s[4:5], s60, v18
	v_subrev_co_u32_e64 v15, s[2:3], s60, v18
	s_nop 0
	v_cndmask_b32_e64 v44, 0, -1, s[4:5]
	v_cmp_eq_u32_e64 s[4:5], s61, v19
	v_subbrev_co_u32_e64 v14, s[2:3], 0, v14, s[2:3]
	s_nop 0
	v_cndmask_b32_e64 v33, v33, v44, s[4:5]
	v_cmp_le_u32_e32 vcc, s61, v13
	v_cmp_ne_u32_e64 s[2:3], 0, v33
	s_nop 0
	v_cndmask_b32_e64 v17, 0, -1, vcc
	v_cmp_le_u32_e32 vcc, s60, v12
	v_cndmask_b32_e64 v14, v19, v14, s[2:3]
	s_nop 0
	v_cndmask_b32_e64 v19, 0, -1, vcc
	v_cmp_eq_u32_e32 vcc, s61, v13
	s_nop 1
	v_cndmask_b32_e32 v17, v17, v19, vcc
	v_cmp_ne_u32_e32 vcc, 0, v17
	s_nop 1
	v_cndmask_b32_e32 v13, v13, v14, vcc
	v_cndmask_b32_e64 v14, v18, v15, s[2:3]
	v_cndmask_b32_e32 v12, v12, v14, vcc
	v_xor_b32_e32 v12, v12, v16
	v_xor_b32_e32 v13, v13, v16
	v_sub_co_u32_e32 v12, vcc, v12, v16
                                        ; implicit-def: $vgpr14_vgpr15
	s_nop 1
	v_subb_co_u32_e32 v13, vcc, v13, v16, vcc
.LBB44_33:                              ;   in Loop: Header=BB44_11 Depth=1
	s_andn2_saveexec_b64 s[2:3], s[58:59]
	s_cbranch_execz .LBB44_35
; %bb.34:                               ;   in Loop: Header=BB44_11 Depth=1
	v_cvt_f32_u32_e32 v12, s20
	s_sub_i32 s4, 0, s20
	v_rcp_iflag_f32_e32 v12, v12
	s_nop 0
	v_mul_f32_e32 v12, 0x4f7ffffe, v12
	v_cvt_u32_f32_e32 v12, v12
	v_mul_lo_u32 v13, s4, v12
	v_mul_hi_u32 v13, v12, v13
	v_add_u32_e32 v12, v12, v13
	v_mul_hi_u32 v12, v14, v12
	v_mul_lo_u32 v12, v12, s20
	v_sub_u32_e32 v12, v14, v12
	v_subrev_u32_e32 v13, s20, v12
	v_cmp_le_u32_e32 vcc, s20, v12
	s_nop 1
	v_cndmask_b32_e32 v12, v12, v13, vcc
	v_subrev_u32_e32 v13, s20, v12
	v_cmp_le_u32_e32 vcc, s20, v12
	s_nop 1
	v_cndmask_b32_e32 v12, v12, v13, vcc
	v_mov_b32_e32 v13, v32
.LBB44_35:                              ;   in Loop: Header=BB44_11 Depth=1
	s_or_b64 exec, exec, s[2:3]
	s_and_b64 vcc, exec, s[0:1]
	s_cbranch_vccnz .LBB44_29
.LBB44_36:                              ;   in Loop: Header=BB44_11 Depth=1
	v_mad_u64_u32 v[44:45], s[2:3], s40, v38, v[30:31]
	v_mul_lo_u32 v14, s40, v39
	v_mul_lo_u32 v15, s41, v38
	v_add3_u32 v45, v15, v45, v14
	v_or_b32_e32 v33, s21, v45
	v_cmp_ne_u64_e32 vcc, 0, v[32:33]
	s_and_saveexec_b64 s[2:3], vcc
	s_xor_b64 s[58:59], exec, s[2:3]
	s_cbranch_execz .LBB44_38
; %bb.37:                               ;   in Loop: Header=BB44_11 Depth=1
	s_ashr_i32 s2, s21, 31
	s_add_u32 s4, s20, s2
	s_mov_b32 s3, s2
	s_addc_u32 s5, s21, s2
	s_xor_b64 s[60:61], s[4:5], s[2:3]
	v_cvt_f32_u32_e32 v14, s60
	v_cvt_f32_u32_e32 v15, s61
	s_sub_u32 s4, 0, s60
	s_subb_u32 s5, 0, s61
	v_ashrrev_i32_e32 v46, 31, v45
	v_fmac_f32_e32 v14, 0x4f800000, v15
	v_rcp_f32_e32 v14, v14
	v_mov_b32_e32 v47, v46
	v_mul_f32_e32 v14, 0x5f7ffffc, v14
	v_mul_f32_e32 v15, 0x2f800000, v14
	v_trunc_f32_e32 v15, v15
	v_fmac_f32_e32 v14, 0xcf800000, v15
	v_cvt_u32_f32_e32 v15, v15
	v_cvt_u32_f32_e32 v14, v14
	v_readfirstlane_b32 s67, v15
	v_readfirstlane_b32 s2, v14
	s_mul_i32 s3, s4, s67
	s_mul_hi_u32 s69, s4, s2
	s_mul_i32 s68, s5, s2
	s_add_i32 s3, s69, s3
	s_add_i32 s3, s3, s68
	s_mul_i32 s70, s4, s2
	s_mul_i32 s69, s2, s3
	s_mul_hi_u32 s71, s2, s70
	s_mul_hi_u32 s68, s2, s3
	s_add_u32 s69, s71, s69
	s_addc_u32 s68, 0, s68
	s_mul_hi_u32 s72, s67, s70
	s_mul_i32 s70, s67, s70
	s_add_u32 s69, s69, s70
	s_mul_hi_u32 s71, s67, s3
	s_addc_u32 s68, s68, s72
	s_addc_u32 s69, s71, 0
	s_mul_i32 s3, s67, s3
	s_add_u32 s3, s68, s3
	s_addc_u32 s68, 0, s69
	s_add_u32 s69, s2, s3
	s_cselect_b64 s[2:3], -1, 0
	s_cmp_lg_u64 s[2:3], 0
	s_addc_u32 s67, s67, s68
	s_mul_i32 s2, s4, s67
	s_mul_hi_u32 s3, s4, s69
	s_add_i32 s2, s3, s2
	s_mul_i32 s5, s5, s69
	s_add_i32 s2, s2, s5
	s_mul_i32 s4, s4, s69
	s_mul_hi_u32 s5, s67, s4
	s_mul_i32 s68, s67, s4
	s_mul_i32 s71, s69, s2
	s_mul_hi_u32 s4, s69, s4
	s_mul_hi_u32 s70, s69, s2
	s_add_u32 s4, s4, s71
	s_addc_u32 s70, 0, s70
	s_add_u32 s4, s4, s68
	s_mul_hi_u32 s3, s67, s2
	s_addc_u32 s4, s70, s5
	s_addc_u32 s3, s3, 0
	s_mul_i32 s2, s67, s2
	s_add_u32 s2, s4, s2
	s_addc_u32 s4, 0, s3
	s_add_u32 s5, s69, s2
	s_cselect_b64 s[2:3], -1, 0
	s_cmp_lg_u64 s[2:3], 0
	v_lshl_add_u64 v[14:15], v[44:45], 0, v[46:47]
	s_addc_u32 s4, s67, s4
	v_xor_b32_e32 v47, v14, v46
	v_xor_b32_e32 v33, v15, v46
	v_mad_u64_u32 v[14:15], s[2:3], v47, s4, 0
	v_mul_hi_u32 v44, v47, s5
	v_mov_b32_e32 v45, v32
	v_lshl_add_u64 v[14:15], v[44:45], 0, v[14:15]
	v_mad_u64_u32 v[48:49], s[2:3], v33, s5, 0
	v_add_co_u32_e32 v14, vcc, v14, v48
	v_mad_u64_u32 v[44:45], s[2:3], v33, s4, 0
	s_nop 0
	v_addc_co_u32_e32 v14, vcc, v15, v49, vcc
	v_mov_b32_e32 v15, v32
	s_nop 0
	v_addc_co_u32_e32 v45, vcc, 0, v45, vcc
	v_lshl_add_u64 v[14:15], v[14:15], 0, v[44:45]
	v_mul_lo_u32 v44, s61, v14
	v_mul_lo_u32 v45, s60, v15
	v_mad_u64_u32 v[14:15], s[2:3], s60, v14, 0
	v_add3_u32 v15, v15, v45, v44
	v_sub_u32_e32 v44, v33, v15
	v_mov_b32_e32 v45, s61
	v_sub_co_u32_e32 v14, vcc, v47, v14
	s_nop 1
	v_subb_co_u32_e64 v44, s[2:3], v44, v45, vcc
	v_subrev_co_u32_e64 v47, s[2:3], s60, v14
	v_subb_co_u32_e32 v15, vcc, v33, v15, vcc
	s_nop 0
	v_subbrev_co_u32_e64 v48, s[4:5], 0, v44, s[2:3]
	v_cmp_le_u32_e64 s[4:5], s61, v48
	v_subb_co_u32_e64 v44, s[2:3], v44, v45, s[2:3]
	s_nop 0
	v_cndmask_b32_e64 v49, 0, -1, s[4:5]
	v_cmp_le_u32_e64 s[4:5], s60, v47
	v_subrev_co_u32_e64 v45, s[2:3], s60, v47
	s_nop 0
	v_cndmask_b32_e64 v50, 0, -1, s[4:5]
	v_cmp_eq_u32_e64 s[4:5], s61, v48
	v_subbrev_co_u32_e64 v44, s[2:3], 0, v44, s[2:3]
	s_nop 0
	v_cndmask_b32_e64 v49, v49, v50, s[4:5]
	v_cmp_le_u32_e32 vcc, s61, v15
	v_cmp_ne_u32_e64 s[2:3], 0, v49
	s_nop 0
	v_cndmask_b32_e64 v33, 0, -1, vcc
	v_cmp_le_u32_e32 vcc, s60, v14
	v_cndmask_b32_e64 v44, v48, v44, s[2:3]
	s_nop 0
	v_cndmask_b32_e64 v48, 0, -1, vcc
	v_cmp_eq_u32_e32 vcc, s61, v15
	s_nop 1
	v_cndmask_b32_e32 v33, v33, v48, vcc
	v_cmp_ne_u32_e32 vcc, 0, v33
	v_cndmask_b32_e64 v33, v47, v45, s[2:3]
	s_nop 0
	v_cndmask_b32_e32 v14, v14, v33, vcc
	v_cndmask_b32_e32 v15, v15, v44, vcc
	v_xor_b32_e32 v14, v14, v46
	v_xor_b32_e32 v15, v15, v46
	v_sub_co_u32_e32 v14, vcc, v14, v46
                                        ; implicit-def: $vgpr44_vgpr45
	s_nop 1
	v_subb_co_u32_e32 v15, vcc, v15, v46, vcc
.LBB44_38:                              ;   in Loop: Header=BB44_11 Depth=1
	s_andn2_saveexec_b64 s[2:3], s[58:59]
	s_cbranch_execz .LBB44_40
; %bb.39:                               ;   in Loop: Header=BB44_11 Depth=1
	v_cvt_f32_u32_e32 v14, s20
	s_sub_i32 s4, 0, s20
	v_rcp_iflag_f32_e32 v14, v14
	s_nop 0
	v_mul_f32_e32 v14, 0x4f7ffffe, v14
	v_cvt_u32_f32_e32 v14, v14
	v_mul_lo_u32 v15, s4, v14
	v_mul_hi_u32 v15, v14, v15
	v_add_u32_e32 v14, v14, v15
	v_mul_hi_u32 v14, v44, v14
	v_mul_lo_u32 v14, v14, s20
	v_sub_u32_e32 v14, v44, v14
	v_subrev_u32_e32 v15, s20, v14
	v_cmp_le_u32_e32 vcc, s20, v14
	s_nop 1
	v_cndmask_b32_e32 v14, v14, v15, vcc
	v_subrev_u32_e32 v15, s20, v14
	v_cmp_le_u32_e32 vcc, s20, v14
	s_nop 1
	v_cndmask_b32_e32 v14, v14, v15, vcc
	v_mov_b32_e32 v15, v32
.LBB44_40:                              ;   in Loop: Header=BB44_11 Depth=1
	s_or_b64 exec, exec, s[2:3]
	s_and_b64 vcc, exec, s[0:1]
	s_cbranch_vccnz .LBB44_30
.LBB44_41:                              ;   in Loop: Header=BB44_11 Depth=1
	v_mad_u64_u32 v[44:45], s[2:3], s40, v40, v[28:29]
	v_mul_lo_u32 v16, s40, v41
	v_mul_lo_u32 v17, s41, v40
	v_add3_u32 v45, v17, v45, v16
	v_or_b32_e32 v33, s21, v45
	v_cmp_ne_u64_e32 vcc, 0, v[32:33]
	s_and_saveexec_b64 s[2:3], vcc
	s_xor_b64 s[58:59], exec, s[2:3]
	s_cbranch_execz .LBB44_43
; %bb.42:                               ;   in Loop: Header=BB44_11 Depth=1
	s_ashr_i32 s2, s21, 31
	s_add_u32 s4, s20, s2
	s_mov_b32 s3, s2
	s_addc_u32 s5, s21, s2
	s_xor_b64 s[60:61], s[4:5], s[2:3]
	v_cvt_f32_u32_e32 v16, s60
	v_cvt_f32_u32_e32 v17, s61
	s_sub_u32 s4, 0, s60
	s_subb_u32 s5, 0, s61
	v_ashrrev_i32_e32 v46, 31, v45
	v_fmac_f32_e32 v16, 0x4f800000, v17
	v_rcp_f32_e32 v16, v16
	v_mov_b32_e32 v47, v46
	v_mul_f32_e32 v16, 0x5f7ffffc, v16
	v_mul_f32_e32 v17, 0x2f800000, v16
	v_trunc_f32_e32 v17, v17
	v_fmac_f32_e32 v16, 0xcf800000, v17
	v_cvt_u32_f32_e32 v17, v17
	v_cvt_u32_f32_e32 v16, v16
	v_readfirstlane_b32 s67, v17
	v_readfirstlane_b32 s2, v16
	s_mul_i32 s3, s4, s67
	s_mul_hi_u32 s69, s4, s2
	s_mul_i32 s68, s5, s2
	s_add_i32 s3, s69, s3
	s_add_i32 s3, s3, s68
	s_mul_i32 s70, s4, s2
	s_mul_i32 s69, s2, s3
	s_mul_hi_u32 s71, s2, s70
	s_mul_hi_u32 s68, s2, s3
	s_add_u32 s69, s71, s69
	s_addc_u32 s68, 0, s68
	s_mul_hi_u32 s72, s67, s70
	s_mul_i32 s70, s67, s70
	s_add_u32 s69, s69, s70
	s_mul_hi_u32 s71, s67, s3
	s_addc_u32 s68, s68, s72
	s_addc_u32 s69, s71, 0
	s_mul_i32 s3, s67, s3
	s_add_u32 s3, s68, s3
	s_addc_u32 s68, 0, s69
	s_add_u32 s69, s2, s3
	s_cselect_b64 s[2:3], -1, 0
	s_cmp_lg_u64 s[2:3], 0
	s_addc_u32 s67, s67, s68
	s_mul_i32 s2, s4, s67
	s_mul_hi_u32 s3, s4, s69
	s_add_i32 s2, s3, s2
	s_mul_i32 s5, s5, s69
	s_add_i32 s2, s2, s5
	s_mul_i32 s4, s4, s69
	s_mul_hi_u32 s5, s67, s4
	s_mul_i32 s68, s67, s4
	s_mul_i32 s71, s69, s2
	s_mul_hi_u32 s4, s69, s4
	s_mul_hi_u32 s70, s69, s2
	s_add_u32 s4, s4, s71
	s_addc_u32 s70, 0, s70
	s_add_u32 s4, s4, s68
	s_mul_hi_u32 s3, s67, s2
	s_addc_u32 s4, s70, s5
	s_addc_u32 s3, s3, 0
	s_mul_i32 s2, s67, s2
	s_add_u32 s2, s4, s2
	s_addc_u32 s4, 0, s3
	s_add_u32 s5, s69, s2
	s_cselect_b64 s[2:3], -1, 0
	s_cmp_lg_u64 s[2:3], 0
	v_lshl_add_u64 v[16:17], v[44:45], 0, v[46:47]
	s_addc_u32 s4, s67, s4
	v_xor_b32_e32 v47, v16, v46
	v_xor_b32_e32 v33, v17, v46
	v_mad_u64_u32 v[16:17], s[2:3], v47, s4, 0
	v_mul_hi_u32 v44, v47, s5
	v_mov_b32_e32 v45, v32
	v_lshl_add_u64 v[16:17], v[44:45], 0, v[16:17]
	v_mad_u64_u32 v[48:49], s[2:3], v33, s5, 0
	v_add_co_u32_e32 v16, vcc, v16, v48
	v_mad_u64_u32 v[44:45], s[2:3], v33, s4, 0
	s_nop 0
	v_addc_co_u32_e32 v16, vcc, v17, v49, vcc
	v_mov_b32_e32 v17, v32
	s_nop 0
	v_addc_co_u32_e32 v45, vcc, 0, v45, vcc
	v_lshl_add_u64 v[16:17], v[16:17], 0, v[44:45]
	v_mul_lo_u32 v44, s61, v16
	v_mul_lo_u32 v45, s60, v17
	v_mad_u64_u32 v[16:17], s[2:3], s60, v16, 0
	v_add3_u32 v17, v17, v45, v44
	v_sub_u32_e32 v44, v33, v17
	v_mov_b32_e32 v45, s61
	v_sub_co_u32_e32 v16, vcc, v47, v16
	s_nop 1
	v_subb_co_u32_e64 v44, s[2:3], v44, v45, vcc
	v_subrev_co_u32_e64 v47, s[2:3], s60, v16
	v_subb_co_u32_e32 v17, vcc, v33, v17, vcc
	s_nop 0
	v_subbrev_co_u32_e64 v48, s[4:5], 0, v44, s[2:3]
	v_cmp_le_u32_e64 s[4:5], s61, v48
	v_subb_co_u32_e64 v44, s[2:3], v44, v45, s[2:3]
	s_nop 0
	v_cndmask_b32_e64 v49, 0, -1, s[4:5]
	v_cmp_le_u32_e64 s[4:5], s60, v47
	v_subrev_co_u32_e64 v45, s[2:3], s60, v47
	s_nop 0
	v_cndmask_b32_e64 v50, 0, -1, s[4:5]
	v_cmp_eq_u32_e64 s[4:5], s61, v48
	v_subbrev_co_u32_e64 v44, s[2:3], 0, v44, s[2:3]
	s_nop 0
	v_cndmask_b32_e64 v49, v49, v50, s[4:5]
	v_cmp_le_u32_e32 vcc, s61, v17
	v_cmp_ne_u32_e64 s[2:3], 0, v49
	s_nop 0
	v_cndmask_b32_e64 v33, 0, -1, vcc
	v_cmp_le_u32_e32 vcc, s60, v16
	v_cndmask_b32_e64 v44, v48, v44, s[2:3]
	s_nop 0
	v_cndmask_b32_e64 v48, 0, -1, vcc
	v_cmp_eq_u32_e32 vcc, s61, v17
	s_nop 1
	v_cndmask_b32_e32 v33, v33, v48, vcc
	v_cmp_ne_u32_e32 vcc, 0, v33
	v_cndmask_b32_e64 v33, v47, v45, s[2:3]
	s_nop 0
	v_cndmask_b32_e32 v16, v16, v33, vcc
	v_cndmask_b32_e32 v17, v17, v44, vcc
	v_xor_b32_e32 v16, v16, v46
	v_xor_b32_e32 v17, v17, v46
	v_sub_co_u32_e32 v16, vcc, v16, v46
                                        ; implicit-def: $vgpr44_vgpr45
	s_nop 1
	v_subb_co_u32_e32 v17, vcc, v17, v46, vcc
.LBB44_43:                              ;   in Loop: Header=BB44_11 Depth=1
	s_andn2_saveexec_b64 s[2:3], s[58:59]
	s_cbranch_execz .LBB44_45
; %bb.44:                               ;   in Loop: Header=BB44_11 Depth=1
	v_cvt_f32_u32_e32 v16, s20
	s_sub_i32 s4, 0, s20
	v_rcp_iflag_f32_e32 v16, v16
	s_nop 0
	v_mul_f32_e32 v16, 0x4f7ffffe, v16
	v_cvt_u32_f32_e32 v16, v16
	v_mul_lo_u32 v17, s4, v16
	v_mul_hi_u32 v17, v16, v17
	v_add_u32_e32 v16, v16, v17
	v_mul_hi_u32 v16, v44, v16
	v_mul_lo_u32 v16, v16, s20
	v_sub_u32_e32 v16, v44, v16
	v_subrev_u32_e32 v17, s20, v16
	v_cmp_le_u32_e32 vcc, s20, v16
	s_nop 1
	v_cndmask_b32_e32 v16, v16, v17, vcc
	v_subrev_u32_e32 v17, s20, v16
	v_cmp_le_u32_e32 vcc, s20, v16
	s_nop 1
	v_cndmask_b32_e32 v16, v16, v17, vcc
	v_mov_b32_e32 v17, v32
.LBB44_45:                              ;   in Loop: Header=BB44_11 Depth=1
	s_or_b64 exec, exec, s[2:3]
	s_and_b64 vcc, exec, s[0:1]
	s_cbranch_vccnz .LBB44_10
.LBB44_46:                              ;   in Loop: Header=BB44_11 Depth=1
	v_mad_u64_u32 v[44:45], s[0:1], s40, v42, v[0:1]
	v_mul_lo_u32 v18, s40, v43
	v_mul_lo_u32 v19, s41, v42
	v_add3_u32 v45, v19, v45, v18
	v_or_b32_e32 v33, s21, v45
	v_cmp_ne_u64_e32 vcc, 0, v[32:33]
	s_and_saveexec_b64 s[0:1], vcc
	s_xor_b64 s[4:5], exec, s[0:1]
	s_cbranch_execz .LBB44_48
; %bb.47:                               ;   in Loop: Header=BB44_11 Depth=1
	s_ashr_i32 s0, s21, 31
	s_add_u32 s2, s20, s0
	s_mov_b32 s1, s0
	s_addc_u32 s3, s21, s0
	s_xor_b64 s[58:59], s[2:3], s[0:1]
	v_cvt_f32_u32_e32 v18, s58
	v_cvt_f32_u32_e32 v19, s59
	s_sub_u32 s2, 0, s58
	s_subb_u32 s3, 0, s59
	v_ashrrev_i32_e32 v46, 31, v45
	v_fmac_f32_e32 v18, 0x4f800000, v19
	v_rcp_f32_e32 v18, v18
	v_mov_b32_e32 v47, v46
	v_mul_f32_e32 v18, 0x5f7ffffc, v18
	v_mul_f32_e32 v19, 0x2f800000, v18
	v_trunc_f32_e32 v19, v19
	v_fmac_f32_e32 v18, 0xcf800000, v19
	v_cvt_u32_f32_e32 v19, v19
	v_cvt_u32_f32_e32 v18, v18
	v_readfirstlane_b32 s60, v19
	v_readfirstlane_b32 s0, v18
	s_mul_i32 s1, s2, s60
	s_mul_hi_u32 s67, s2, s0
	s_mul_i32 s61, s3, s0
	s_add_i32 s1, s67, s1
	s_add_i32 s1, s1, s61
	s_mul_i32 s68, s2, s0
	s_mul_i32 s67, s0, s1
	s_mul_hi_u32 s69, s0, s68
	s_mul_hi_u32 s61, s0, s1
	s_add_u32 s67, s69, s67
	s_addc_u32 s61, 0, s61
	s_mul_hi_u32 s70, s60, s68
	s_mul_i32 s68, s60, s68
	s_add_u32 s67, s67, s68
	s_mul_hi_u32 s69, s60, s1
	s_addc_u32 s61, s61, s70
	s_addc_u32 s67, s69, 0
	s_mul_i32 s1, s60, s1
	s_add_u32 s1, s61, s1
	s_addc_u32 s61, 0, s67
	s_add_u32 s67, s0, s1
	s_cselect_b64 s[0:1], -1, 0
	s_cmp_lg_u64 s[0:1], 0
	s_addc_u32 s60, s60, s61
	s_mul_i32 s0, s2, s60
	s_mul_hi_u32 s1, s2, s67
	s_add_i32 s0, s1, s0
	s_mul_i32 s3, s3, s67
	s_add_i32 s0, s0, s3
	s_mul_i32 s2, s2, s67
	s_mul_hi_u32 s3, s60, s2
	s_mul_i32 s61, s60, s2
	s_mul_i32 s69, s67, s0
	s_mul_hi_u32 s2, s67, s2
	s_mul_hi_u32 s68, s67, s0
	s_add_u32 s2, s2, s69
	s_addc_u32 s68, 0, s68
	s_add_u32 s2, s2, s61
	s_mul_hi_u32 s1, s60, s0
	s_addc_u32 s2, s68, s3
	s_addc_u32 s1, s1, 0
	s_mul_i32 s0, s60, s0
	s_add_u32 s0, s2, s0
	s_addc_u32 s2, 0, s1
	s_add_u32 s3, s67, s0
	s_cselect_b64 s[0:1], -1, 0
	s_cmp_lg_u64 s[0:1], 0
	v_lshl_add_u64 v[18:19], v[44:45], 0, v[46:47]
	s_addc_u32 s2, s60, s2
	v_xor_b32_e32 v47, v18, v46
	v_xor_b32_e32 v33, v19, v46
	v_mad_u64_u32 v[18:19], s[0:1], v47, s2, 0
	v_mul_hi_u32 v44, v47, s3
	v_mov_b32_e32 v45, v32
	v_lshl_add_u64 v[18:19], v[44:45], 0, v[18:19]
	v_mad_u64_u32 v[48:49], s[0:1], v33, s3, 0
	v_add_co_u32_e32 v18, vcc, v18, v48
	v_mad_u64_u32 v[44:45], s[0:1], v33, s2, 0
	s_nop 0
	v_addc_co_u32_e32 v18, vcc, v19, v49, vcc
	v_mov_b32_e32 v19, v32
	s_nop 0
	v_addc_co_u32_e32 v45, vcc, 0, v45, vcc
	v_lshl_add_u64 v[18:19], v[18:19], 0, v[44:45]
	v_mul_lo_u32 v44, s59, v18
	v_mul_lo_u32 v45, s58, v19
	v_mad_u64_u32 v[18:19], s[0:1], s58, v18, 0
	v_add3_u32 v19, v19, v45, v44
	v_sub_u32_e32 v44, v33, v19
	v_mov_b32_e32 v45, s59
	v_sub_co_u32_e32 v18, vcc, v47, v18
	s_nop 1
	v_subb_co_u32_e64 v44, s[0:1], v44, v45, vcc
	v_subrev_co_u32_e64 v47, s[0:1], s58, v18
	v_subb_co_u32_e32 v19, vcc, v33, v19, vcc
	s_nop 0
	v_subbrev_co_u32_e64 v48, s[2:3], 0, v44, s[0:1]
	v_cmp_le_u32_e64 s[2:3], s59, v48
	v_subb_co_u32_e64 v44, s[0:1], v44, v45, s[0:1]
	s_nop 0
	v_cndmask_b32_e64 v49, 0, -1, s[2:3]
	v_cmp_le_u32_e64 s[2:3], s58, v47
	v_subrev_co_u32_e64 v45, s[0:1], s58, v47
	s_nop 0
	v_cndmask_b32_e64 v50, 0, -1, s[2:3]
	v_cmp_eq_u32_e64 s[2:3], s59, v48
	v_subbrev_co_u32_e64 v44, s[0:1], 0, v44, s[0:1]
	s_nop 0
	v_cndmask_b32_e64 v49, v49, v50, s[2:3]
	v_cmp_le_u32_e32 vcc, s59, v19
	v_cmp_ne_u32_e64 s[0:1], 0, v49
	s_nop 0
	v_cndmask_b32_e64 v33, 0, -1, vcc
	v_cmp_le_u32_e32 vcc, s58, v18
	v_cndmask_b32_e64 v44, v48, v44, s[0:1]
	s_nop 0
	v_cndmask_b32_e64 v48, 0, -1, vcc
	v_cmp_eq_u32_e32 vcc, s59, v19
	s_nop 1
	v_cndmask_b32_e32 v33, v33, v48, vcc
	v_cmp_ne_u32_e32 vcc, 0, v33
	v_cndmask_b32_e64 v33, v47, v45, s[0:1]
	s_nop 0
	v_cndmask_b32_e32 v18, v18, v33, vcc
	v_cndmask_b32_e32 v19, v19, v44, vcc
	v_xor_b32_e32 v18, v18, v46
	v_xor_b32_e32 v19, v19, v46
	v_sub_co_u32_e32 v18, vcc, v18, v46
                                        ; implicit-def: $vgpr44_vgpr45
	s_nop 1
	v_subb_co_u32_e32 v19, vcc, v19, v46, vcc
.LBB44_48:                              ;   in Loop: Header=BB44_11 Depth=1
	s_andn2_saveexec_b64 s[0:1], s[4:5]
	s_cbranch_execz .LBB44_9
; %bb.49:                               ;   in Loop: Header=BB44_11 Depth=1
	v_cvt_f32_u32_e32 v18, s20
	s_sub_i32 s2, 0, s20
	v_rcp_iflag_f32_e32 v18, v18
	s_nop 0
	v_mul_f32_e32 v18, 0x4f7ffffe, v18
	v_cvt_u32_f32_e32 v18, v18
	v_mul_lo_u32 v19, s2, v18
	v_mul_hi_u32 v19, v18, v19
	v_add_u32_e32 v18, v18, v19
	v_mul_hi_u32 v18, v44, v18
	v_mul_lo_u32 v18, v18, s20
	v_sub_u32_e32 v18, v44, v18
	v_subrev_u32_e32 v19, s20, v18
	v_cmp_le_u32_e32 vcc, s20, v18
	s_nop 1
	v_cndmask_b32_e32 v18, v18, v19, vcc
	v_subrev_u32_e32 v19, s20, v18
	v_cmp_le_u32_e32 vcc, s20, v18
	s_nop 1
	v_cndmask_b32_e32 v18, v18, v19, vcc
	v_mov_b32_e32 v19, v32
	s_branch .LBB44_9
.LBB44_50:
	s_or_b64 exec, exec, s[50:51]
	v_mad_u64_u32 v[2:3], s[0:1], v22, s10, v[2:3]
	v_mul_lo_u32 v0, v22, s11
	v_mul_lo_u32 v1, v23, s10
	v_cmp_ne_u64_e32 vcc, v[20:21], v[22:23]
	v_add3_u32 v3, v1, v3, v0
	v_mov_b64_e32 v[6:7], s[52:53]
	v_mov_b64_e32 v[4:5], s[40:41]
	s_and_b64 s[0:1], vcc, exec
	s_andn2_saveexec_b64 s[2:3], s[24:25]
	s_cbranch_execz .LBB44_7
.LBB44_51:
	s_sub_u32 s4, 0, s8
	s_subb_u32 s5, 0, s9
	s_lshl_b64 s[24:25], s[10:11], 1
	v_mov_b64_e32 v[4:5], s[4:5]
	v_mov_b64_e32 v[6:7], s[24:25]
	s_or_b64 s[0:1], s[0:1], exec
	s_or_b64 exec, exec, s[2:3]
	s_and_b64 exec, exec, s[0:1]
	s_cbranch_execz .LBB44_64
.LBB44_52:
	v_cvt_f32_u32_e32 v8, s8
	s_sub_u32 s18, 0, s18
	v_cndmask_b32_e64 v10, 0, 1, s[22:23]
	s_subb_u32 s19, 0, s19
	v_rcp_iflag_f32_e32 v9, v8
	s_sub_i32 s2, 0, s8
	v_cmp_ne_u32_e64 s[0:1], 1, v10
	s_mov_b64 s[24:25], 0
	v_mul_f32_e32 v9, 0x4f7ffffe, v9
	v_cvt_u32_f32_e32 v9, v9
	v_lshl_add_u64 v[0:1], v[2:3], 1, s[14:15]
	v_mov_b32_e32 v8, 0
	s_ashr_i32 s14, s9, 31
	v_mul_lo_u32 v10, s2, v9
	v_mul_hi_u32 v10, v9, v10
	v_add_u32_e32 v16, v9, v10
	s_ashr_i32 s22, s21, 31
	s_branch .LBB44_55
.LBB44_53:                              ;   in Loop: Header=BB44_55 Depth=1
	s_or_b64 exec, exec, s[2:3]
	v_ashrrev_i32_e32 v9, 31, v15
	v_and_b32_e32 v13, s21, v9
	v_and_b32_e32 v12, s20, v9
	v_lshl_add_u64 v[12:13], v[12:13], 0, v[14:15]
	v_mov_b32_e32 v9, s21
	v_sub_co_u32_e32 v14, vcc, s20, v12
	s_nop 1
	v_subb_co_u32_e32 v9, vcc, v9, v13, vcc
	v_cmp_gt_i64_e32 vcc, s[16:17], v[12:13]
	s_nop 1
	v_cndmask_b32_e32 v13, v9, v13, vcc
	v_cndmask_b32_e32 v12, v14, v12, vcc
.LBB44_54:                              ;   in Loop: Header=BB44_55 Depth=1
	v_mul_lo_u32 v9, v11, s16
	v_mul_lo_u32 v14, v10, s17
	v_mad_u64_u32 v[10:11], s[2:3], v10, s16, 0
	v_add3_u32 v11, v11, v14, v9
	v_lshl_add_u64 v[10:11], v[10:11], 1, s[12:13]
	v_lshl_add_u64 v[10:11], v[12:13], 1, v[10:11]
	global_load_ushort v9, v[10:11], off
	v_lshl_add_u64 v[2:3], v[2:3], 0, s[10:11]
	v_cmp_le_i64_e32 vcc, s[6:7], v[2:3]
	s_or_b64 s[24:25], vcc, s[24:25]
	s_waitcnt vmcnt(0)
	global_store_short v[0:1], v9, off
	v_lshl_add_u64 v[0:1], v[0:1], 0, v[6:7]
	s_andn2_b64 exec, exec, s[24:25]
	s_cbranch_execz .LBB44_64
.LBB44_55:                              ; =>This Inner Loop Header: Depth=1
	v_or_b32_e32 v9, s9, v3
	v_cmp_ne_u64_e32 vcc, 0, v[8:9]
                                        ; implicit-def: $vgpr10_vgpr11
	s_and_saveexec_b64 s[2:3], vcc
	s_xor_b64 s[4:5], exec, s[2:3]
	s_cbranch_execnz .LBB44_58
; %bb.56:                               ;   in Loop: Header=BB44_55 Depth=1
	s_andn2_saveexec_b64 s[2:3], s[4:5]
	s_cbranch_execnz .LBB44_59
.LBB44_57:                              ;   in Loop: Header=BB44_55 Depth=1
	s_or_b64 exec, exec, s[2:3]
	s_and_b64 vcc, exec, s[0:1]
	v_mov_b64_e32 v[12:13], 0
	s_cbranch_vccnz .LBB44_54
	s_branch .LBB44_60
.LBB44_58:                              ;   in Loop: Header=BB44_55 Depth=1
	s_add_u32 s2, s8, s14
	s_mov_b32 s15, s14
	s_addc_u32 s3, s9, s14
	s_xor_b64 s[26:27], s[2:3], s[14:15]
	v_cvt_f32_u32_e32 v9, s26
	v_cvt_f32_u32_e32 v10, s27
	s_sub_u32 s15, 0, s26
	s_subb_u32 s23, 0, s27
	v_mov_b32_e32 v15, v8
	v_fmac_f32_e32 v9, 0x4f800000, v10
	v_rcp_f32_e32 v9, v9
	s_nop 0
	v_mul_f32_e32 v9, 0x5f7ffffc, v9
	v_mul_f32_e32 v10, 0x2f800000, v9
	v_trunc_f32_e32 v10, v10
	v_fmac_f32_e32 v9, 0xcf800000, v10
	v_cvt_u32_f32_e32 v10, v10
	v_cvt_u32_f32_e32 v9, v9
	v_readfirstlane_b32 s28, v10
	v_readfirstlane_b32 s2, v9
	s_mul_i32 s3, s15, s28
	s_mul_hi_u32 s30, s15, s2
	s_mul_i32 s29, s23, s2
	s_add_i32 s3, s30, s3
	s_add_i32 s3, s3, s29
	s_mul_i32 s31, s15, s2
	s_mul_i32 s30, s2, s3
	s_mul_hi_u32 s33, s2, s31
	s_mul_hi_u32 s29, s2, s3
	s_add_u32 s30, s33, s30
	s_addc_u32 s29, 0, s29
	s_mul_hi_u32 s34, s28, s31
	s_mul_i32 s31, s28, s31
	s_add_u32 s30, s30, s31
	s_mul_hi_u32 s33, s28, s3
	s_addc_u32 s29, s29, s34
	s_addc_u32 s30, s33, 0
	s_mul_i32 s3, s28, s3
	s_add_u32 s3, s29, s3
	s_addc_u32 s29, 0, s30
	s_add_u32 s30, s2, s3
	s_cselect_b64 s[2:3], -1, 0
	s_cmp_lg_u64 s[2:3], 0
	s_addc_u32 s28, s28, s29
	s_mul_i32 s2, s15, s28
	s_mul_hi_u32 s3, s15, s30
	s_add_i32 s2, s3, s2
	s_mul_i32 s23, s23, s30
	s_add_i32 s2, s2, s23
	s_mul_i32 s15, s15, s30
	s_mul_hi_u32 s23, s28, s15
	s_mul_i32 s29, s28, s15
	s_mul_i32 s33, s30, s2
	s_mul_hi_u32 s15, s30, s15
	s_mul_hi_u32 s31, s30, s2
	s_add_u32 s15, s15, s33
	s_addc_u32 s31, 0, s31
	s_add_u32 s15, s15, s29
	s_mul_hi_u32 s3, s28, s2
	s_addc_u32 s15, s31, s23
	s_addc_u32 s3, s3, 0
	s_mul_i32 s2, s28, s2
	s_add_u32 s2, s15, s2
	s_addc_u32 s15, 0, s3
	s_add_u32 s23, s30, s2
	v_ashrrev_i32_e32 v10, 31, v3
	s_cselect_b64 s[2:3], -1, 0
	v_mov_b32_e32 v11, v10
	s_cmp_lg_u64 s[2:3], 0
	v_lshl_add_u64 v[12:13], v[2:3], 0, v[10:11]
	s_addc_u32 s15, s28, s15
	v_xor_b32_e32 v11, v12, v10
	v_xor_b32_e32 v9, v13, v10
	v_mad_u64_u32 v[12:13], s[2:3], v11, s15, 0
	v_mul_hi_u32 v14, v11, s23
	v_lshl_add_u64 v[12:13], v[14:15], 0, v[12:13]
	v_mad_u64_u32 v[18:19], s[2:3], v9, s23, 0
	v_add_co_u32_e32 v12, vcc, v12, v18
	v_mad_u64_u32 v[14:15], s[2:3], v9, s15, 0
	s_nop 0
	v_addc_co_u32_e32 v12, vcc, v13, v19, vcc
	v_mov_b32_e32 v13, v8
	s_nop 0
	v_addc_co_u32_e32 v15, vcc, 0, v15, vcc
	v_lshl_add_u64 v[12:13], v[12:13], 0, v[14:15]
	v_mul_lo_u32 v17, s27, v12
	v_mul_lo_u32 v18, s26, v13
	v_mad_u64_u32 v[14:15], s[2:3], s26, v12, 0
	v_add3_u32 v17, v15, v18, v17
	v_sub_u32_e32 v15, v9, v17
	v_mov_b32_e32 v18, s27
	v_sub_co_u32_e32 v11, vcc, v11, v14
	s_nop 1
	v_subb_co_u32_e64 v14, s[2:3], v15, v18, vcc
	v_subrev_co_u32_e64 v15, s[2:3], s26, v11
	v_subb_co_u32_e32 v9, vcc, v9, v17, vcc
	s_nop 0
	v_subbrev_co_u32_e64 v14, s[2:3], 0, v14, s[2:3]
	v_cmp_le_u32_e64 s[2:3], s27, v14
	v_cmp_le_u32_e32 vcc, s27, v9
	s_nop 0
	v_cndmask_b32_e64 v18, 0, -1, s[2:3]
	v_cmp_le_u32_e64 s[2:3], s26, v15
	v_cndmask_b32_e64 v17, 0, -1, vcc
	v_cmp_le_u32_e32 vcc, s26, v11
	v_cndmask_b32_e64 v15, 0, -1, s[2:3]
	v_cmp_eq_u32_e64 s[2:3], s27, v14
	v_cndmask_b32_e64 v11, 0, -1, vcc
	v_cmp_eq_u32_e32 vcc, s27, v9
	v_cndmask_b32_e64 v20, v18, v15, s[2:3]
	v_lshl_add_u64 v[14:15], v[12:13], 0, 2
	v_lshl_add_u64 v[18:19], v[12:13], 0, 1
	v_cmp_ne_u32_e64 s[2:3], 0, v20
	v_cndmask_b32_e32 v9, v17, v11, vcc
	v_cmp_ne_u32_e32 vcc, 0, v9
	v_cndmask_b32_e64 v11, v18, v14, s[2:3]
	v_cndmask_b32_e64 v15, v19, v15, s[2:3]
	v_cndmask_b32_e32 v11, v12, v11, vcc
	v_xor_b32_e32 v12, s14, v10
	v_cndmask_b32_e32 v9, v13, v15, vcc
	v_xor_b32_e32 v10, v11, v12
	v_xor_b32_e32 v9, v9, v12
	v_sub_co_u32_e32 v10, vcc, v10, v12
	s_nop 1
	v_subb_co_u32_e32 v11, vcc, v9, v12, vcc
	s_andn2_saveexec_b64 s[2:3], s[4:5]
	s_cbranch_execz .LBB44_57
.LBB44_59:                              ;   in Loop: Header=BB44_55 Depth=1
	v_mul_hi_u32 v9, v2, v16
	v_mul_lo_u32 v10, v9, s8
	v_sub_u32_e32 v10, v2, v10
	v_subrev_u32_e32 v11, s8, v10
	v_cmp_le_u32_e32 vcc, s8, v10
	s_nop 1
	v_cndmask_b32_e32 v10, v10, v11, vcc
	v_add_u32_e32 v11, 1, v9
	v_cndmask_b32_e32 v9, v9, v11, vcc
	v_add_u32_e32 v11, 1, v9
	v_cmp_le_u32_e32 vcc, s8, v10
	s_nop 1
	v_cndmask_b32_e32 v10, v9, v11, vcc
	v_mov_b32_e32 v11, v8
	s_or_b64 exec, exec, s[2:3]
	s_and_b64 vcc, exec, s[0:1]
	v_mov_b64_e32 v[12:13], 0
	s_cbranch_vccnz .LBB44_54
.LBB44_60:                              ;   in Loop: Header=BB44_55 Depth=1
	v_lshl_add_u64 v[12:13], s[18:19], 0, v[2:3]
	v_mul_lo_u32 v9, v4, v11
	v_mul_lo_u32 v14, v5, v10
	v_mad_u64_u32 v[12:13], s[2:3], v4, v10, v[12:13]
	v_add3_u32 v13, v14, v13, v9
	v_or_b32_e32 v9, s21, v13
	v_cmp_ne_u64_e32 vcc, 0, v[8:9]
                                        ; implicit-def: $vgpr14_vgpr15
	s_and_saveexec_b64 s[2:3], vcc
	s_xor_b64 s[26:27], exec, s[2:3]
	s_cbranch_execz .LBB44_62
; %bb.61:                               ;   in Loop: Header=BB44_55 Depth=1
	s_add_u32 s2, s20, s22
	s_mov_b32 s23, s22
	s_addc_u32 s3, s21, s22
	s_xor_b64 s[28:29], s[2:3], s[22:23]
	v_cvt_f32_u32_e32 v9, s28
	v_cvt_f32_u32_e32 v14, s29
	s_sub_u32 s4, 0, s28
	s_subb_u32 s5, 0, s29
	v_ashrrev_i32_e32 v18, 31, v13
	v_fmac_f32_e32 v9, 0x4f800000, v14
	v_rcp_f32_e32 v9, v9
	v_mov_b32_e32 v19, v18
	v_lshl_add_u64 v[12:13], v[12:13], 0, v[18:19]
	v_xor_b32_e32 v17, v12, v18
	v_mul_f32_e32 v9, 0x5f7ffffc, v9
	v_mul_f32_e32 v14, 0x2f800000, v9
	v_trunc_f32_e32 v14, v14
	v_fmac_f32_e32 v9, 0xcf800000, v14
	v_cvt_u32_f32_e32 v14, v14
	v_cvt_u32_f32_e32 v9, v9
	v_mov_b32_e32 v15, v8
	v_readfirstlane_b32 s15, v14
	v_readfirstlane_b32 s2, v9
	s_mul_i32 s3, s4, s15
	s_mul_hi_u32 s30, s4, s2
	s_mul_i32 s23, s5, s2
	s_add_i32 s3, s30, s3
	s_add_i32 s3, s3, s23
	s_mul_i32 s31, s4, s2
	s_mul_i32 s30, s2, s3
	s_mul_hi_u32 s33, s2, s31
	s_mul_hi_u32 s23, s2, s3
	s_add_u32 s30, s33, s30
	s_addc_u32 s23, 0, s23
	s_mul_hi_u32 s34, s15, s31
	s_mul_i32 s31, s15, s31
	s_add_u32 s30, s30, s31
	s_mul_hi_u32 s33, s15, s3
	s_addc_u32 s23, s23, s34
	s_addc_u32 s30, s33, 0
	s_mul_i32 s3, s15, s3
	s_add_u32 s3, s23, s3
	s_addc_u32 s23, 0, s30
	s_add_u32 s30, s2, s3
	s_cselect_b64 s[2:3], -1, 0
	s_cmp_lg_u64 s[2:3], 0
	s_addc_u32 s15, s15, s23
	s_mul_i32 s2, s4, s15
	s_mul_hi_u32 s3, s4, s30
	s_add_i32 s2, s3, s2
	s_mul_i32 s5, s5, s30
	s_add_i32 s2, s2, s5
	s_mul_i32 s4, s4, s30
	s_mul_hi_u32 s5, s15, s4
	s_mul_i32 s23, s15, s4
	s_mul_i32 s33, s30, s2
	s_mul_hi_u32 s4, s30, s4
	s_mul_hi_u32 s31, s30, s2
	s_add_u32 s4, s4, s33
	s_addc_u32 s31, 0, s31
	s_add_u32 s4, s4, s23
	s_mul_hi_u32 s3, s15, s2
	s_addc_u32 s4, s31, s5
	s_addc_u32 s3, s3, 0
	s_mul_i32 s2, s15, s2
	s_add_u32 s2, s4, s2
	s_addc_u32 s4, 0, s3
	s_add_u32 s5, s30, s2
	s_cselect_b64 s[2:3], -1, 0
	s_cmp_lg_u64 s[2:3], 0
	s_addc_u32 s4, s15, s4
	v_xor_b32_e32 v9, v13, v18
	v_mad_u64_u32 v[12:13], s[2:3], v17, s4, 0
	v_mul_hi_u32 v14, v17, s5
	v_lshl_add_u64 v[12:13], v[14:15], 0, v[12:13]
	v_mad_u64_u32 v[20:21], s[2:3], v9, s5, 0
	v_add_co_u32_e32 v12, vcc, v12, v20
	v_mad_u64_u32 v[14:15], s[2:3], v9, s4, 0
	s_nop 0
	v_addc_co_u32_e32 v12, vcc, v13, v21, vcc
	v_mov_b32_e32 v13, v8
	s_nop 0
	v_addc_co_u32_e32 v15, vcc, 0, v15, vcc
	v_lshl_add_u64 v[12:13], v[12:13], 0, v[14:15]
	v_mul_lo_u32 v14, s29, v12
	v_mul_lo_u32 v15, s28, v13
	v_mad_u64_u32 v[12:13], s[2:3], s28, v12, 0
	v_add3_u32 v13, v13, v15, v14
	v_sub_u32_e32 v14, v9, v13
	v_mov_b32_e32 v15, s29
	v_sub_co_u32_e32 v12, vcc, v17, v12
	s_nop 1
	v_subb_co_u32_e64 v14, s[2:3], v14, v15, vcc
	v_subrev_co_u32_e64 v17, s[2:3], s28, v12
	v_subb_co_u32_e32 v9, vcc, v9, v13, vcc
	s_nop 0
	v_subbrev_co_u32_e64 v19, s[4:5], 0, v14, s[2:3]
	v_cmp_le_u32_e64 s[4:5], s29, v19
	v_subb_co_u32_e64 v14, s[2:3], v14, v15, s[2:3]
	s_nop 0
	v_cndmask_b32_e64 v20, 0, -1, s[4:5]
	v_cmp_le_u32_e64 s[4:5], s28, v17
	v_subrev_co_u32_e64 v15, s[2:3], s28, v17
	s_nop 0
	v_cndmask_b32_e64 v21, 0, -1, s[4:5]
	v_cmp_eq_u32_e64 s[4:5], s29, v19
	v_subbrev_co_u32_e64 v14, s[2:3], 0, v14, s[2:3]
	s_nop 0
	v_cndmask_b32_e64 v20, v20, v21, s[4:5]
	v_cmp_le_u32_e32 vcc, s29, v9
	v_cmp_ne_u32_e64 s[2:3], 0, v20
	s_nop 0
	v_cndmask_b32_e64 v13, 0, -1, vcc
	v_cmp_le_u32_e32 vcc, s28, v12
	v_cndmask_b32_e64 v14, v19, v14, s[2:3]
	s_nop 0
	v_cndmask_b32_e64 v19, 0, -1, vcc
	v_cmp_eq_u32_e32 vcc, s29, v9
	s_nop 1
	v_cndmask_b32_e32 v13, v13, v19, vcc
	v_cmp_ne_u32_e32 vcc, 0, v13
	v_cndmask_b32_e64 v13, v17, v15, s[2:3]
	s_nop 0
	v_cndmask_b32_e32 v12, v12, v13, vcc
	v_cndmask_b32_e32 v9, v9, v14, vcc
	v_xor_b32_e32 v12, v12, v18
	v_xor_b32_e32 v9, v9, v18
	v_sub_co_u32_e32 v14, vcc, v12, v18
                                        ; implicit-def: $vgpr12_vgpr13
	s_nop 1
	v_subb_co_u32_e32 v15, vcc, v9, v18, vcc
.LBB44_62:                              ;   in Loop: Header=BB44_55 Depth=1
	s_andn2_saveexec_b64 s[2:3], s[26:27]
	s_cbranch_execz .LBB44_53
; %bb.63:                               ;   in Loop: Header=BB44_55 Depth=1
	v_cvt_f32_u32_e32 v9, s20
	s_sub_i32 s4, 0, s20
	v_mov_b32_e32 v15, v8
	v_rcp_iflag_f32_e32 v9, v9
	s_nop 0
	v_mul_f32_e32 v9, 0x4f7ffffe, v9
	v_cvt_u32_f32_e32 v9, v9
	v_mul_lo_u32 v13, s4, v9
	v_mul_hi_u32 v13, v9, v13
	v_add_u32_e32 v9, v9, v13
	v_mul_hi_u32 v9, v12, v9
	v_mul_lo_u32 v9, v9, s20
	v_sub_u32_e32 v9, v12, v9
	v_subrev_u32_e32 v12, s20, v9
	v_cmp_le_u32_e32 vcc, s20, v9
	s_nop 1
	v_cndmask_b32_e32 v9, v9, v12, vcc
	v_subrev_u32_e32 v12, s20, v9
	v_cmp_le_u32_e32 vcc, s20, v9
	s_nop 1
	v_cndmask_b32_e32 v14, v9, v12, vcc
	s_branch .LBB44_53
.LBB44_64:
	s_endpgm
	.section	.rodata,"a",@progbits
	.p2align	6, 0x0
	.amdhsa_kernel _ZN2at6native12_GLOBAL__N_121reflection_pad1d_flatIN3c108BFloat16EEEvPKT_PS5_lllll
		.amdhsa_group_segment_fixed_size 0
		.amdhsa_private_segment_fixed_size 0
		.amdhsa_kernarg_size 312
		.amdhsa_user_sgpr_count 2
		.amdhsa_user_sgpr_dispatch_ptr 0
		.amdhsa_user_sgpr_queue_ptr 0
		.amdhsa_user_sgpr_kernarg_segment_ptr 1
		.amdhsa_user_sgpr_dispatch_id 0
		.amdhsa_user_sgpr_kernarg_preload_length 0
		.amdhsa_user_sgpr_kernarg_preload_offset 0
		.amdhsa_user_sgpr_private_segment_size 0
		.amdhsa_uses_dynamic_stack 0
		.amdhsa_enable_private_segment 0
		.amdhsa_system_sgpr_workgroup_id_x 1
		.amdhsa_system_sgpr_workgroup_id_y 0
		.amdhsa_system_sgpr_workgroup_id_z 0
		.amdhsa_system_sgpr_workgroup_info 0
		.amdhsa_system_vgpr_workitem_id 0
		.amdhsa_next_free_vgpr 52
		.amdhsa_next_free_sgpr 73
		.amdhsa_accum_offset 52
		.amdhsa_reserve_vcc 1
		.amdhsa_float_round_mode_32 0
		.amdhsa_float_round_mode_16_64 0
		.amdhsa_float_denorm_mode_32 3
		.amdhsa_float_denorm_mode_16_64 3
		.amdhsa_dx10_clamp 1
		.amdhsa_ieee_mode 1
		.amdhsa_fp16_overflow 0
		.amdhsa_tg_split 0
		.amdhsa_exception_fp_ieee_invalid_op 0
		.amdhsa_exception_fp_denorm_src 0
		.amdhsa_exception_fp_ieee_div_zero 0
		.amdhsa_exception_fp_ieee_overflow 0
		.amdhsa_exception_fp_ieee_underflow 0
		.amdhsa_exception_fp_ieee_inexact 0
		.amdhsa_exception_int_div_zero 0
	.end_amdhsa_kernel
	.section	.text._ZN2at6native12_GLOBAL__N_121reflection_pad1d_flatIN3c108BFloat16EEEvPKT_PS5_lllll,"axG",@progbits,_ZN2at6native12_GLOBAL__N_121reflection_pad1d_flatIN3c108BFloat16EEEvPKT_PS5_lllll,comdat
.Lfunc_end44:
	.size	_ZN2at6native12_GLOBAL__N_121reflection_pad1d_flatIN3c108BFloat16EEEvPKT_PS5_lllll, .Lfunc_end44-_ZN2at6native12_GLOBAL__N_121reflection_pad1d_flatIN3c108BFloat16EEEvPKT_PS5_lllll
                                        ; -- End function
	.set _ZN2at6native12_GLOBAL__N_121reflection_pad1d_flatIN3c108BFloat16EEEvPKT_PS5_lllll.num_vgpr, 52
	.set _ZN2at6native12_GLOBAL__N_121reflection_pad1d_flatIN3c108BFloat16EEEvPKT_PS5_lllll.num_agpr, 0
	.set _ZN2at6native12_GLOBAL__N_121reflection_pad1d_flatIN3c108BFloat16EEEvPKT_PS5_lllll.numbered_sgpr, 73
	.set _ZN2at6native12_GLOBAL__N_121reflection_pad1d_flatIN3c108BFloat16EEEvPKT_PS5_lllll.num_named_barrier, 0
	.set _ZN2at6native12_GLOBAL__N_121reflection_pad1d_flatIN3c108BFloat16EEEvPKT_PS5_lllll.private_seg_size, 0
	.set _ZN2at6native12_GLOBAL__N_121reflection_pad1d_flatIN3c108BFloat16EEEvPKT_PS5_lllll.uses_vcc, 1
	.set _ZN2at6native12_GLOBAL__N_121reflection_pad1d_flatIN3c108BFloat16EEEvPKT_PS5_lllll.uses_flat_scratch, 0
	.set _ZN2at6native12_GLOBAL__N_121reflection_pad1d_flatIN3c108BFloat16EEEvPKT_PS5_lllll.has_dyn_sized_stack, 0
	.set _ZN2at6native12_GLOBAL__N_121reflection_pad1d_flatIN3c108BFloat16EEEvPKT_PS5_lllll.has_recursion, 0
	.set _ZN2at6native12_GLOBAL__N_121reflection_pad1d_flatIN3c108BFloat16EEEvPKT_PS5_lllll.has_indirect_call, 0
	.section	.AMDGPU.csdata,"",@progbits
; Kernel info:
; codeLenInByte = 10416
; TotalNumSgprs: 79
; NumVgprs: 52
; NumAgprs: 0
; TotalNumVgprs: 52
; ScratchSize: 0
; MemoryBound: 0
; FloatMode: 240
; IeeeMode: 1
; LDSByteSize: 0 bytes/workgroup (compile time only)
; SGPRBlocks: 9
; VGPRBlocks: 6
; NumSGPRsForWavesPerEU: 79
; NumVGPRsForWavesPerEU: 52
; AccumOffset: 52
; Occupancy: 8
; WaveLimiterHint : 0
; COMPUTE_PGM_RSRC2:SCRATCH_EN: 0
; COMPUTE_PGM_RSRC2:USER_SGPR: 2
; COMPUTE_PGM_RSRC2:TRAP_HANDLER: 0
; COMPUTE_PGM_RSRC2:TGID_X_EN: 1
; COMPUTE_PGM_RSRC2:TGID_Y_EN: 0
; COMPUTE_PGM_RSRC2:TGID_Z_EN: 0
; COMPUTE_PGM_RSRC2:TIDIG_COMP_CNT: 0
; COMPUTE_PGM_RSRC3_GFX90A:ACCUM_OFFSET: 12
; COMPUTE_PGM_RSRC3_GFX90A:TG_SPLIT: 0
	.section	.text._ZN2at6native12_GLOBAL__N_136reflection_pad1d_backward_out_kernelIdEEvPT_PKS3_lll,"axG",@progbits,_ZN2at6native12_GLOBAL__N_136reflection_pad1d_backward_out_kernelIdEEvPT_PKS3_lll,comdat
	.globl	_ZN2at6native12_GLOBAL__N_136reflection_pad1d_backward_out_kernelIdEEvPT_PKS3_lll ; -- Begin function _ZN2at6native12_GLOBAL__N_136reflection_pad1d_backward_out_kernelIdEEvPT_PKS3_lll
	.p2align	8
	.type	_ZN2at6native12_GLOBAL__N_136reflection_pad1d_backward_out_kernelIdEEvPT_PKS3_lll,@function
_ZN2at6native12_GLOBAL__N_136reflection_pad1d_backward_out_kernelIdEEvPT_PKS3_lll: ; @_ZN2at6native12_GLOBAL__N_136reflection_pad1d_backward_out_kernelIdEEvPT_PKS3_lll
; %bb.0:
	s_load_dword s5, s[0:1], 0x34
	s_load_dwordx2 s[16:17], s[0:1], 0x20
	s_load_dwordx8 s[8:15], s[0:1], 0x0
	s_add_u32 s6, s0, 40
	s_addc_u32 s7, s1, 0
	s_waitcnt lgkmcnt(0)
	s_and_b32 s0, s5, 0xffff
	v_mov_b32_e32 v1, 0
	v_mov_b32_e32 v2, s2
	s_add_u32 s2, s14, s12
	v_mad_u64_u32 v[0:1], s[0:1], s0, v2, v[0:1]
	s_addc_u32 s5, s15, s13
	s_add_u32 s0, s2, s16
	s_addc_u32 s1, s5, s17
	v_cmp_gt_i64_e32 vcc, s[0:1], v[0:1]
	s_and_saveexec_b64 s[16:17], vcc
	s_cbranch_execz .LBB45_2
; %bb.1:
	s_load_dword s16, s[6:7], 0x4
	s_sub_u32 s6, 0, s14
	s_subb_u32 s7, 0, s15
	v_cmp_gt_i64_e64 s[18:19], s[6:7], 0
	v_mov_b32_e32 v6, s15
	s_waitcnt lgkmcnt(0)
	s_mul_i32 s4, s16, s4
	s_add_i32 s4, s4, s3
	s_mul_i32 s3, s13, s4
	s_mul_hi_u32 s13, s12, s4
	s_mul_i32 s16, s1, s4
	s_add_i32 s1, s13, s3
	s_mul_hi_u32 s3, s0, s4
	s_add_i32 s17, s3, s16
	s_and_b64 s[18:19], s[18:19], exec
	s_mul_i32 s16, s0, s4
	s_cselect_b32 s0, s7, 0
	s_cselect_b32 s3, s6, 0
	v_cmp_gt_i64_e64 s[6:7], s[14:15], 0
	s_and_b64 s[6:7], s[6:7], exec
	s_cselect_b32 s7, s15, 0
	s_cselect_b32 s6, s14, 0
	s_add_u32 s13, s2, s14
	s_addc_u32 s18, s5, s15
	s_not_b64 s[6:7], s[6:7]
	s_add_u32 s6, s13, s6
	s_addc_u32 s7, s18, s7
	s_add_u32 s3, s6, s3
	s_addc_u32 s13, s7, s0
	s_lshl_b64 s[6:7], s[16:17], 3
	s_add_u32 s6, s10, s6
	s_addc_u32 s7, s11, s7
	v_lshl_add_u64 v[2:3], v[0:1], 3, s[6:7]
	global_load_dwordx2 v[2:3], v[2:3], off
	v_subrev_co_u32_e32 v7, vcc, s14, v0
	v_mov_b32_e32 v4, s8
	s_nop 0
	v_subb_co_u32_e32 v6, vcc, v1, v6, vcc
	v_ashrrev_i32_e32 v8, 31, v6
	v_xor_b32_e32 v9, v6, v8
	v_xor_b32_e32 v6, v7, v8
	v_sub_co_u32_e32 v6, vcc, v6, v8
	v_mov_b32_e32 v5, s9
	s_nop 0
	v_subb_co_u32_e32 v7, vcc, v9, v8, vcc
	v_mov_b32_e32 v9, s5
	v_subrev_co_u32_e32 v8, vcc, s2, v0
	s_mul_i32 s0, s12, s4
	s_nop 0
	v_subb_co_u32_e32 v9, vcc, v1, v9, vcc
	v_lshl_add_u64 v[8:9], v[8:9], 0, 1
	v_ashrrev_i32_e32 v10, 31, v9
	v_xor_b32_e32 v8, v8, v10
	v_xor_b32_e32 v9, v9, v10
	v_sub_co_u32_e32 v8, vcc, v8, v10
	s_nop 1
	v_subb_co_u32_e32 v9, vcc, v9, v10, vcc
	v_lshl_add_u64 v[0:1], v[0:1], 0, v[8:9]
	v_mov_b32_e32 v8, s13
	v_sub_co_u32_e32 v0, vcc, s3, v0
	s_nop 1
	v_subb_co_u32_e32 v1, vcc, v8, v1, vcc
	v_lshl_add_u64 v[0:1], v[0:1], 3, v[4:5]
	v_lshl_add_u64 v[0:1], v[6:7], 3, v[0:1]
	;; [unrolled: 1-line block ×3, first 2 shown]
	s_waitcnt vmcnt(0)
	global_atomic_add_f64 v[0:1], v[2:3], off
.LBB45_2:
	s_endpgm
	.section	.rodata,"a",@progbits
	.p2align	6, 0x0
	.amdhsa_kernel _ZN2at6native12_GLOBAL__N_136reflection_pad1d_backward_out_kernelIdEEvPT_PKS3_lll
		.amdhsa_group_segment_fixed_size 0
		.amdhsa_private_segment_fixed_size 0
		.amdhsa_kernarg_size 296
		.amdhsa_user_sgpr_count 2
		.amdhsa_user_sgpr_dispatch_ptr 0
		.amdhsa_user_sgpr_queue_ptr 0
		.amdhsa_user_sgpr_kernarg_segment_ptr 1
		.amdhsa_user_sgpr_dispatch_id 0
		.amdhsa_user_sgpr_kernarg_preload_length 0
		.amdhsa_user_sgpr_kernarg_preload_offset 0
		.amdhsa_user_sgpr_private_segment_size 0
		.amdhsa_uses_dynamic_stack 0
		.amdhsa_enable_private_segment 0
		.amdhsa_system_sgpr_workgroup_id_x 1
		.amdhsa_system_sgpr_workgroup_id_y 1
		.amdhsa_system_sgpr_workgroup_id_z 1
		.amdhsa_system_sgpr_workgroup_info 0
		.amdhsa_system_vgpr_workitem_id 0
		.amdhsa_next_free_vgpr 11
		.amdhsa_next_free_sgpr 20
		.amdhsa_accum_offset 12
		.amdhsa_reserve_vcc 1
		.amdhsa_float_round_mode_32 0
		.amdhsa_float_round_mode_16_64 0
		.amdhsa_float_denorm_mode_32 3
		.amdhsa_float_denorm_mode_16_64 3
		.amdhsa_dx10_clamp 1
		.amdhsa_ieee_mode 1
		.amdhsa_fp16_overflow 0
		.amdhsa_tg_split 0
		.amdhsa_exception_fp_ieee_invalid_op 0
		.amdhsa_exception_fp_denorm_src 0
		.amdhsa_exception_fp_ieee_div_zero 0
		.amdhsa_exception_fp_ieee_overflow 0
		.amdhsa_exception_fp_ieee_underflow 0
		.amdhsa_exception_fp_ieee_inexact 0
		.amdhsa_exception_int_div_zero 0
	.end_amdhsa_kernel
	.section	.text._ZN2at6native12_GLOBAL__N_136reflection_pad1d_backward_out_kernelIdEEvPT_PKS3_lll,"axG",@progbits,_ZN2at6native12_GLOBAL__N_136reflection_pad1d_backward_out_kernelIdEEvPT_PKS3_lll,comdat
.Lfunc_end45:
	.size	_ZN2at6native12_GLOBAL__N_136reflection_pad1d_backward_out_kernelIdEEvPT_PKS3_lll, .Lfunc_end45-_ZN2at6native12_GLOBAL__N_136reflection_pad1d_backward_out_kernelIdEEvPT_PKS3_lll
                                        ; -- End function
	.set _ZN2at6native12_GLOBAL__N_136reflection_pad1d_backward_out_kernelIdEEvPT_PKS3_lll.num_vgpr, 11
	.set _ZN2at6native12_GLOBAL__N_136reflection_pad1d_backward_out_kernelIdEEvPT_PKS3_lll.num_agpr, 0
	.set _ZN2at6native12_GLOBAL__N_136reflection_pad1d_backward_out_kernelIdEEvPT_PKS3_lll.numbered_sgpr, 20
	.set _ZN2at6native12_GLOBAL__N_136reflection_pad1d_backward_out_kernelIdEEvPT_PKS3_lll.num_named_barrier, 0
	.set _ZN2at6native12_GLOBAL__N_136reflection_pad1d_backward_out_kernelIdEEvPT_PKS3_lll.private_seg_size, 0
	.set _ZN2at6native12_GLOBAL__N_136reflection_pad1d_backward_out_kernelIdEEvPT_PKS3_lll.uses_vcc, 1
	.set _ZN2at6native12_GLOBAL__N_136reflection_pad1d_backward_out_kernelIdEEvPT_PKS3_lll.uses_flat_scratch, 0
	.set _ZN2at6native12_GLOBAL__N_136reflection_pad1d_backward_out_kernelIdEEvPT_PKS3_lll.has_dyn_sized_stack, 0
	.set _ZN2at6native12_GLOBAL__N_136reflection_pad1d_backward_out_kernelIdEEvPT_PKS3_lll.has_recursion, 0
	.set _ZN2at6native12_GLOBAL__N_136reflection_pad1d_backward_out_kernelIdEEvPT_PKS3_lll.has_indirect_call, 0
	.section	.AMDGPU.csdata,"",@progbits
; Kernel info:
; codeLenInByte = 404
; TotalNumSgprs: 26
; NumVgprs: 11
; NumAgprs: 0
; TotalNumVgprs: 11
; ScratchSize: 0
; MemoryBound: 0
; FloatMode: 240
; IeeeMode: 1
; LDSByteSize: 0 bytes/workgroup (compile time only)
; SGPRBlocks: 3
; VGPRBlocks: 1
; NumSGPRsForWavesPerEU: 26
; NumVGPRsForWavesPerEU: 11
; AccumOffset: 12
; Occupancy: 8
; WaveLimiterHint : 0
; COMPUTE_PGM_RSRC2:SCRATCH_EN: 0
; COMPUTE_PGM_RSRC2:USER_SGPR: 2
; COMPUTE_PGM_RSRC2:TRAP_HANDLER: 0
; COMPUTE_PGM_RSRC2:TGID_X_EN: 1
; COMPUTE_PGM_RSRC2:TGID_Y_EN: 1
; COMPUTE_PGM_RSRC2:TGID_Z_EN: 1
; COMPUTE_PGM_RSRC2:TIDIG_COMP_CNT: 0
; COMPUTE_PGM_RSRC3_GFX90A:ACCUM_OFFSET: 2
; COMPUTE_PGM_RSRC3_GFX90A:TG_SPLIT: 0
	.section	.text._ZN2at6native12_GLOBAL__N_130reflection_pad1d_backward_flatIdEEvPT_PKS3_llll,"axG",@progbits,_ZN2at6native12_GLOBAL__N_130reflection_pad1d_backward_flatIdEEvPT_PKS3_llll,comdat
	.globl	_ZN2at6native12_GLOBAL__N_130reflection_pad1d_backward_flatIdEEvPT_PKS3_llll ; -- Begin function _ZN2at6native12_GLOBAL__N_130reflection_pad1d_backward_flatIdEEvPT_PKS3_llll
	.p2align	8
	.type	_ZN2at6native12_GLOBAL__N_130reflection_pad1d_backward_flatIdEEvPT_PKS3_llll,@function
_ZN2at6native12_GLOBAL__N_130reflection_pad1d_backward_flatIdEEvPT_PKS3_llll: ; @_ZN2at6native12_GLOBAL__N_130reflection_pad1d_backward_flatIdEEvPT_PKS3_llll
; %bb.0:
	s_load_dword s3, s[0:1], 0x3c
	s_load_dwordx8 s[4:11], s[0:1], 0x10
	s_add_u32 s16, s0, 48
	v_mov_b32_e32 v2, 0
	s_addc_u32 s17, s1, 0
	s_waitcnt lgkmcnt(0)
	s_and_b32 s3, s3, 0xffff
	s_mul_i32 s12, s10, s9
	s_mul_hi_u32 s13, s10, s8
	v_mov_b32_e32 v1, v2
	s_add_i32 s12, s13, s12
	s_mul_i32 s11, s11, s8
	v_mov_b32_e32 v3, s2
	s_add_i32 s11, s12, s11
	s_mul_i32 s10, s10, s8
	v_mad_u64_u32 v[0:1], s[12:13], s3, v3, v[0:1]
	v_cmp_gt_i64_e32 vcc, s[10:11], v[0:1]
	s_and_saveexec_b64 s[12:13], vcc
	s_cbranch_execz .LBB46_13
; %bb.1:
	v_cvt_f32_u32_e32 v3, s8
	s_load_dword s2, s[16:17], 0x0
	s_load_dwordx4 s[12:15], s[0:1], 0x0
	s_lshl_b64 s[0:1], s[4:5], 1
	s_add_u32 s16, s0, -2
	v_rcp_iflag_f32_e32 v3, v3
	s_addc_u32 s17, s1, -1
	s_sub_u32 s30, 0, s8
	s_subb_u32 s31, 0, s9
	v_mul_f32_e32 v3, 0x4f7ffffe, v3
	v_cvt_u32_f32_e32 v12, v3
	s_waitcnt lgkmcnt(0)
	s_mul_hi_u32 s19, s3, s2
	s_mul_i32 s18, s3, s2
	s_sub_u32 s6, 0, s6
	s_mov_b64 s[20:21], 0
	s_subb_u32 s7, 0, s7
	v_lshl_add_u64 v[4:5], v[0:1], 3, s[14:15]
	s_lshl_b64 s[14:15], s[18:19], 3
	s_ashr_i32 s22, s9, 31
	v_cmp_gt_i64_e64 s[24:25], s[16:17], 0
	s_branch .LBB46_4
.LBB46_2:                               ;   in Loop: Header=BB46_4 Depth=1
	s_or_b64 exec, exec, s[0:1]
	v_ashrrev_i32_e32 v3, 31, v11
	v_and_b32_e32 v9, s17, v3
	v_and_b32_e32 v8, s16, v3
	v_lshl_add_u64 v[8:9], v[8:9], 0, v[10:11]
	v_mov_b32_e32 v3, s17
	v_sub_co_u32_e32 v10, vcc, s16, v8
	s_nop 1
	v_subb_co_u32_e32 v3, vcc, v3, v9, vcc
	v_cmp_gt_i64_e32 vcc, s[4:5], v[8:9]
	s_nop 1
	v_cndmask_b32_e32 v9, v3, v9, vcc
	v_cndmask_b32_e32 v8, v10, v8, vcc
.LBB46_3:                               ;   in Loop: Header=BB46_4 Depth=1
	global_load_dwordx2 v[10:11], v[4:5], off
	v_mul_lo_u32 v3, v7, s4
	v_mul_lo_u32 v13, v6, s5
	v_mad_u64_u32 v[6:7], s[0:1], v6, s4, 0
	v_add3_u32 v7, v7, v13, v3
	v_lshl_add_u64 v[6:7], v[6:7], 3, s[12:13]
	v_lshl_add_u64 v[6:7], v[8:9], 3, v[6:7]
	;; [unrolled: 1-line block ×3, first 2 shown]
	v_cmp_le_i64_e32 vcc, s[10:11], v[0:1]
	s_or_b64 s[20:21], vcc, s[20:21]
	v_lshl_add_u64 v[4:5], v[4:5], 0, s[14:15]
	s_waitcnt vmcnt(0)
	global_atomic_add_f64 v[6:7], v[10:11], off
	s_andn2_b64 exec, exec, s[20:21]
	s_cbranch_execz .LBB46_13
.LBB46_4:                               ; =>This Inner Loop Header: Depth=1
	v_or_b32_e32 v3, s9, v1
	v_cmp_ne_u64_e32 vcc, 0, v[2:3]
                                        ; implicit-def: $vgpr6_vgpr7
	s_and_saveexec_b64 s[0:1], vcc
	s_xor_b64 s[2:3], exec, s[0:1]
	s_cbranch_execnz .LBB46_7
; %bb.5:                                ;   in Loop: Header=BB46_4 Depth=1
	s_andn2_saveexec_b64 s[0:1], s[2:3]
	s_cbranch_execnz .LBB46_8
.LBB46_6:                               ;   in Loop: Header=BB46_4 Depth=1
	s_or_b64 exec, exec, s[0:1]
	s_andn2_b64 vcc, exec, s[24:25]
	v_mov_b64_e32 v[8:9], 0
	s_cbranch_vccnz .LBB46_3
	s_branch .LBB46_9
.LBB46_7:                               ;   in Loop: Header=BB46_4 Depth=1
	s_add_u32 s0, s8, s22
	s_mov_b32 s23, s22
	s_addc_u32 s1, s9, s22
	s_xor_b64 s[26:27], s[0:1], s[22:23]
	v_cvt_f32_u32_e32 v3, s26
	v_cvt_f32_u32_e32 v6, s27
	s_sub_u32 s23, 0, s26
	s_subb_u32 s28, 0, s27
	v_mov_b32_e32 v11, v2
	v_fmac_f32_e32 v3, 0x4f800000, v6
	v_rcp_f32_e32 v3, v3
	s_nop 0
	v_mul_f32_e32 v3, 0x5f7ffffc, v3
	v_mul_f32_e32 v6, 0x2f800000, v3
	v_trunc_f32_e32 v6, v6
	v_fmac_f32_e32 v3, 0xcf800000, v6
	v_cvt_u32_f32_e32 v6, v6
	v_cvt_u32_f32_e32 v3, v3
	v_readfirstlane_b32 s29, v6
	v_readfirstlane_b32 s0, v3
	s_mul_i32 s1, s23, s29
	s_mul_hi_u32 s34, s23, s0
	s_mul_i32 s33, s28, s0
	s_add_i32 s1, s34, s1
	s_add_i32 s1, s1, s33
	s_mul_i32 s35, s23, s0
	s_mul_i32 s34, s0, s1
	s_mul_hi_u32 s36, s0, s35
	s_mul_hi_u32 s33, s0, s1
	s_add_u32 s34, s36, s34
	s_addc_u32 s33, 0, s33
	s_mul_hi_u32 s37, s29, s35
	s_mul_i32 s35, s29, s35
	s_add_u32 s34, s34, s35
	s_mul_hi_u32 s36, s29, s1
	s_addc_u32 s33, s33, s37
	s_addc_u32 s34, s36, 0
	s_mul_i32 s1, s29, s1
	s_add_u32 s1, s33, s1
	s_addc_u32 s33, 0, s34
	s_add_u32 s34, s0, s1
	s_cselect_b64 s[0:1], -1, 0
	s_cmp_lg_u64 s[0:1], 0
	s_addc_u32 s29, s29, s33
	s_mul_i32 s0, s23, s29
	s_mul_hi_u32 s1, s23, s34
	s_add_i32 s0, s1, s0
	s_mul_i32 s28, s28, s34
	s_add_i32 s0, s0, s28
	s_mul_i32 s23, s23, s34
	s_mul_hi_u32 s28, s29, s23
	s_mul_i32 s33, s29, s23
	s_mul_i32 s36, s34, s0
	s_mul_hi_u32 s23, s34, s23
	s_mul_hi_u32 s35, s34, s0
	s_add_u32 s23, s23, s36
	s_addc_u32 s35, 0, s35
	s_add_u32 s23, s23, s33
	s_mul_hi_u32 s1, s29, s0
	s_addc_u32 s23, s35, s28
	s_addc_u32 s1, s1, 0
	s_mul_i32 s0, s29, s0
	s_add_u32 s0, s23, s0
	s_addc_u32 s23, 0, s1
	s_add_u32 s28, s34, s0
	v_ashrrev_i32_e32 v6, 31, v1
	s_cselect_b64 s[0:1], -1, 0
	v_mov_b32_e32 v7, v6
	s_cmp_lg_u64 s[0:1], 0
	v_lshl_add_u64 v[8:9], v[0:1], 0, v[6:7]
	s_addc_u32 s23, s29, s23
	v_xor_b32_e32 v7, v8, v6
	v_xor_b32_e32 v3, v9, v6
	v_mad_u64_u32 v[8:9], s[0:1], v7, s23, 0
	v_mul_hi_u32 v10, v7, s28
	v_lshl_add_u64 v[8:9], v[10:11], 0, v[8:9]
	v_mad_u64_u32 v[14:15], s[0:1], v3, s28, 0
	v_add_co_u32_e32 v8, vcc, v8, v14
	v_mad_u64_u32 v[10:11], s[0:1], v3, s23, 0
	s_nop 0
	v_addc_co_u32_e32 v8, vcc, v9, v15, vcc
	v_mov_b32_e32 v9, v2
	s_nop 0
	v_addc_co_u32_e32 v11, vcc, 0, v11, vcc
	v_lshl_add_u64 v[8:9], v[8:9], 0, v[10:11]
	v_mul_lo_u32 v13, s27, v8
	v_mul_lo_u32 v14, s26, v9
	v_mad_u64_u32 v[10:11], s[0:1], s26, v8, 0
	v_add3_u32 v13, v11, v14, v13
	v_sub_u32_e32 v11, v3, v13
	v_mov_b32_e32 v14, s27
	v_sub_co_u32_e32 v7, vcc, v7, v10
	s_nop 1
	v_subb_co_u32_e64 v10, s[0:1], v11, v14, vcc
	v_subrev_co_u32_e64 v11, s[0:1], s26, v7
	v_subb_co_u32_e32 v3, vcc, v3, v13, vcc
	s_nop 0
	v_subbrev_co_u32_e64 v10, s[0:1], 0, v10, s[0:1]
	v_cmp_le_u32_e64 s[0:1], s27, v10
	v_cmp_le_u32_e32 vcc, s27, v3
	s_nop 0
	v_cndmask_b32_e64 v14, 0, -1, s[0:1]
	v_cmp_le_u32_e64 s[0:1], s26, v11
	v_cndmask_b32_e64 v13, 0, -1, vcc
	v_cmp_le_u32_e32 vcc, s26, v7
	v_cndmask_b32_e64 v11, 0, -1, s[0:1]
	v_cmp_eq_u32_e64 s[0:1], s27, v10
	v_cndmask_b32_e64 v7, 0, -1, vcc
	v_cmp_eq_u32_e32 vcc, s27, v3
	v_cndmask_b32_e64 v16, v14, v11, s[0:1]
	v_lshl_add_u64 v[10:11], v[8:9], 0, 2
	v_lshl_add_u64 v[14:15], v[8:9], 0, 1
	v_cmp_ne_u32_e64 s[0:1], 0, v16
	v_cndmask_b32_e32 v3, v13, v7, vcc
	v_cmp_ne_u32_e32 vcc, 0, v3
	v_cndmask_b32_e64 v7, v14, v10, s[0:1]
	v_cndmask_b32_e64 v11, v15, v11, s[0:1]
	v_cndmask_b32_e32 v7, v8, v7, vcc
	v_xor_b32_e32 v8, s22, v6
	v_cndmask_b32_e32 v3, v9, v11, vcc
	v_xor_b32_e32 v6, v7, v8
	v_xor_b32_e32 v3, v3, v8
	v_sub_co_u32_e32 v6, vcc, v6, v8
	s_nop 1
	v_subb_co_u32_e32 v7, vcc, v3, v8, vcc
	s_andn2_saveexec_b64 s[0:1], s[2:3]
	s_cbranch_execz .LBB46_6
.LBB46_8:                               ;   in Loop: Header=BB46_4 Depth=1
	s_sub_i32 s2, 0, s8
	v_mul_lo_u32 v3, s2, v12
	v_mul_hi_u32 v3, v12, v3
	v_add_u32_e32 v3, v12, v3
	v_mul_hi_u32 v3, v0, v3
	v_mul_lo_u32 v6, v3, s8
	v_sub_u32_e32 v6, v0, v6
	v_subrev_u32_e32 v7, s8, v6
	v_cmp_le_u32_e32 vcc, s8, v6
	s_nop 1
	v_cndmask_b32_e32 v6, v6, v7, vcc
	v_add_u32_e32 v7, 1, v3
	v_cndmask_b32_e32 v3, v3, v7, vcc
	v_add_u32_e32 v7, 1, v3
	v_cmp_le_u32_e32 vcc, s8, v6
	s_nop 1
	v_cndmask_b32_e32 v6, v3, v7, vcc
	v_mov_b32_e32 v7, v2
	s_or_b64 exec, exec, s[0:1]
	s_andn2_b64 vcc, exec, s[24:25]
	v_mov_b64_e32 v[8:9], 0
	s_cbranch_vccnz .LBB46_3
.LBB46_9:                               ;   in Loop: Header=BB46_4 Depth=1
	v_lshl_add_u64 v[8:9], s[6:7], 0, v[0:1]
	v_mul_lo_u32 v3, s30, v7
	v_mul_lo_u32 v10, s31, v6
	v_mad_u64_u32 v[8:9], s[0:1], s30, v6, v[8:9]
	v_add3_u32 v9, v10, v9, v3
	v_or_b32_e32 v3, s17, v9
	v_cmp_ne_u64_e32 vcc, 0, v[2:3]
                                        ; implicit-def: $vgpr10_vgpr11
	s_and_saveexec_b64 s[0:1], vcc
	s_xor_b64 s[26:27], exec, s[0:1]
	s_cbranch_execz .LBB46_11
; %bb.10:                               ;   in Loop: Header=BB46_4 Depth=1
	s_ashr_i32 s0, s17, 31
	s_add_u32 s2, s16, s0
	s_mov_b32 s1, s0
	s_addc_u32 s3, s17, s0
	s_xor_b64 s[28:29], s[2:3], s[0:1]
	v_cvt_f32_u32_e32 v3, s28
	v_cvt_f32_u32_e32 v10, s29
	s_sub_u32 s2, 0, s28
	s_subb_u32 s3, 0, s29
	v_ashrrev_i32_e32 v14, 31, v9
	v_fmac_f32_e32 v3, 0x4f800000, v10
	v_rcp_f32_e32 v3, v3
	v_mov_b32_e32 v15, v14
	v_lshl_add_u64 v[8:9], v[8:9], 0, v[14:15]
	v_xor_b32_e32 v13, v8, v14
	v_mul_f32_e32 v3, 0x5f7ffffc, v3
	v_mul_f32_e32 v10, 0x2f800000, v3
	v_trunc_f32_e32 v10, v10
	v_fmac_f32_e32 v3, 0xcf800000, v10
	v_cvt_u32_f32_e32 v10, v10
	v_cvt_u32_f32_e32 v3, v3
	v_mov_b32_e32 v11, v2
	v_readfirstlane_b32 s23, v10
	v_readfirstlane_b32 s0, v3
	s_mul_i32 s1, s2, s23
	s_mul_hi_u32 s34, s2, s0
	s_mul_i32 s33, s3, s0
	s_add_i32 s1, s34, s1
	s_add_i32 s1, s1, s33
	s_mul_i32 s35, s2, s0
	s_mul_i32 s34, s0, s1
	s_mul_hi_u32 s36, s0, s35
	s_mul_hi_u32 s33, s0, s1
	s_add_u32 s34, s36, s34
	s_addc_u32 s33, 0, s33
	s_mul_hi_u32 s37, s23, s35
	s_mul_i32 s35, s23, s35
	s_add_u32 s34, s34, s35
	s_mul_hi_u32 s36, s23, s1
	s_addc_u32 s33, s33, s37
	s_addc_u32 s34, s36, 0
	s_mul_i32 s1, s23, s1
	s_add_u32 s1, s33, s1
	s_addc_u32 s33, 0, s34
	s_add_u32 s34, s0, s1
	s_cselect_b64 s[0:1], -1, 0
	s_cmp_lg_u64 s[0:1], 0
	s_addc_u32 s23, s23, s33
	s_mul_i32 s0, s2, s23
	s_mul_hi_u32 s1, s2, s34
	s_add_i32 s0, s1, s0
	s_mul_i32 s3, s3, s34
	s_add_i32 s0, s0, s3
	s_mul_i32 s2, s2, s34
	s_mul_hi_u32 s3, s23, s2
	s_mul_i32 s33, s23, s2
	s_mul_i32 s36, s34, s0
	s_mul_hi_u32 s2, s34, s2
	s_mul_hi_u32 s35, s34, s0
	s_add_u32 s2, s2, s36
	s_addc_u32 s35, 0, s35
	s_add_u32 s2, s2, s33
	s_mul_hi_u32 s1, s23, s0
	s_addc_u32 s2, s35, s3
	s_addc_u32 s1, s1, 0
	s_mul_i32 s0, s23, s0
	s_add_u32 s0, s2, s0
	s_addc_u32 s2, 0, s1
	s_add_u32 s3, s34, s0
	s_cselect_b64 s[0:1], -1, 0
	s_cmp_lg_u64 s[0:1], 0
	s_addc_u32 s2, s23, s2
	v_xor_b32_e32 v3, v9, v14
	v_mad_u64_u32 v[8:9], s[0:1], v13, s2, 0
	v_mul_hi_u32 v10, v13, s3
	v_lshl_add_u64 v[8:9], v[10:11], 0, v[8:9]
	v_mad_u64_u32 v[16:17], s[0:1], v3, s3, 0
	v_add_co_u32_e32 v8, vcc, v8, v16
	v_mad_u64_u32 v[10:11], s[0:1], v3, s2, 0
	s_nop 0
	v_addc_co_u32_e32 v8, vcc, v9, v17, vcc
	v_mov_b32_e32 v9, v2
	s_nop 0
	v_addc_co_u32_e32 v11, vcc, 0, v11, vcc
	v_lshl_add_u64 v[8:9], v[8:9], 0, v[10:11]
	v_mul_lo_u32 v10, s29, v8
	v_mul_lo_u32 v11, s28, v9
	v_mad_u64_u32 v[8:9], s[0:1], s28, v8, 0
	v_add3_u32 v9, v9, v11, v10
	v_sub_u32_e32 v10, v3, v9
	v_mov_b32_e32 v11, s29
	v_sub_co_u32_e32 v8, vcc, v13, v8
	s_nop 1
	v_subb_co_u32_e64 v10, s[0:1], v10, v11, vcc
	v_subrev_co_u32_e64 v13, s[0:1], s28, v8
	v_subb_co_u32_e32 v3, vcc, v3, v9, vcc
	s_nop 0
	v_subbrev_co_u32_e64 v15, s[2:3], 0, v10, s[0:1]
	v_cmp_le_u32_e64 s[2:3], s29, v15
	v_subb_co_u32_e64 v10, s[0:1], v10, v11, s[0:1]
	s_nop 0
	v_cndmask_b32_e64 v16, 0, -1, s[2:3]
	v_cmp_le_u32_e64 s[2:3], s28, v13
	v_subrev_co_u32_e64 v11, s[0:1], s28, v13
	s_nop 0
	v_cndmask_b32_e64 v17, 0, -1, s[2:3]
	v_cmp_eq_u32_e64 s[2:3], s29, v15
	v_subbrev_co_u32_e64 v10, s[0:1], 0, v10, s[0:1]
	s_nop 0
	v_cndmask_b32_e64 v16, v16, v17, s[2:3]
	v_cmp_le_u32_e32 vcc, s29, v3
	v_cmp_ne_u32_e64 s[0:1], 0, v16
	s_nop 0
	v_cndmask_b32_e64 v9, 0, -1, vcc
	v_cmp_le_u32_e32 vcc, s28, v8
	v_cndmask_b32_e64 v10, v15, v10, s[0:1]
	s_nop 0
	v_cndmask_b32_e64 v15, 0, -1, vcc
	v_cmp_eq_u32_e32 vcc, s29, v3
	s_nop 1
	v_cndmask_b32_e32 v9, v9, v15, vcc
	v_cmp_ne_u32_e32 vcc, 0, v9
	v_cndmask_b32_e64 v9, v13, v11, s[0:1]
	s_nop 0
	v_cndmask_b32_e32 v8, v8, v9, vcc
	v_cndmask_b32_e32 v3, v3, v10, vcc
	v_xor_b32_e32 v8, v8, v14
	v_xor_b32_e32 v3, v3, v14
	v_sub_co_u32_e32 v10, vcc, v8, v14
                                        ; implicit-def: $vgpr8_vgpr9
	s_nop 1
	v_subb_co_u32_e32 v11, vcc, v3, v14, vcc
.LBB46_11:                              ;   in Loop: Header=BB46_4 Depth=1
	s_andn2_saveexec_b64 s[0:1], s[26:27]
	s_cbranch_execz .LBB46_2
; %bb.12:                               ;   in Loop: Header=BB46_4 Depth=1
	v_cvt_f32_u32_e32 v3, s16
	s_sub_i32 s2, 0, s16
	v_mov_b32_e32 v11, v2
	v_rcp_iflag_f32_e32 v3, v3
	s_nop 0
	v_mul_f32_e32 v3, 0x4f7ffffe, v3
	v_cvt_u32_f32_e32 v3, v3
	v_mul_lo_u32 v9, s2, v3
	v_mul_hi_u32 v9, v3, v9
	v_add_u32_e32 v3, v3, v9
	v_mul_hi_u32 v3, v8, v3
	v_mul_lo_u32 v3, v3, s16
	v_sub_u32_e32 v3, v8, v3
	v_subrev_u32_e32 v8, s16, v3
	v_cmp_le_u32_e32 vcc, s16, v3
	s_nop 1
	v_cndmask_b32_e32 v3, v3, v8, vcc
	v_subrev_u32_e32 v8, s16, v3
	v_cmp_le_u32_e32 vcc, s16, v3
	s_nop 1
	v_cndmask_b32_e32 v10, v3, v8, vcc
	s_branch .LBB46_2
.LBB46_13:
	s_endpgm
	.section	.rodata,"a",@progbits
	.p2align	6, 0x0
	.amdhsa_kernel _ZN2at6native12_GLOBAL__N_130reflection_pad1d_backward_flatIdEEvPT_PKS3_llll
		.amdhsa_group_segment_fixed_size 0
		.amdhsa_private_segment_fixed_size 0
		.amdhsa_kernarg_size 304
		.amdhsa_user_sgpr_count 2
		.amdhsa_user_sgpr_dispatch_ptr 0
		.amdhsa_user_sgpr_queue_ptr 0
		.amdhsa_user_sgpr_kernarg_segment_ptr 1
		.amdhsa_user_sgpr_dispatch_id 0
		.amdhsa_user_sgpr_kernarg_preload_length 0
		.amdhsa_user_sgpr_kernarg_preload_offset 0
		.amdhsa_user_sgpr_private_segment_size 0
		.amdhsa_uses_dynamic_stack 0
		.amdhsa_enable_private_segment 0
		.amdhsa_system_sgpr_workgroup_id_x 1
		.amdhsa_system_sgpr_workgroup_id_y 0
		.amdhsa_system_sgpr_workgroup_id_z 0
		.amdhsa_system_sgpr_workgroup_info 0
		.amdhsa_system_vgpr_workitem_id 0
		.amdhsa_next_free_vgpr 18
		.amdhsa_next_free_sgpr 38
		.amdhsa_accum_offset 20
		.amdhsa_reserve_vcc 1
		.amdhsa_float_round_mode_32 0
		.amdhsa_float_round_mode_16_64 0
		.amdhsa_float_denorm_mode_32 3
		.amdhsa_float_denorm_mode_16_64 3
		.amdhsa_dx10_clamp 1
		.amdhsa_ieee_mode 1
		.amdhsa_fp16_overflow 0
		.amdhsa_tg_split 0
		.amdhsa_exception_fp_ieee_invalid_op 0
		.amdhsa_exception_fp_denorm_src 0
		.amdhsa_exception_fp_ieee_div_zero 0
		.amdhsa_exception_fp_ieee_overflow 0
		.amdhsa_exception_fp_ieee_underflow 0
		.amdhsa_exception_fp_ieee_inexact 0
		.amdhsa_exception_int_div_zero 0
	.end_amdhsa_kernel
	.section	.text._ZN2at6native12_GLOBAL__N_130reflection_pad1d_backward_flatIdEEvPT_PKS3_llll,"axG",@progbits,_ZN2at6native12_GLOBAL__N_130reflection_pad1d_backward_flatIdEEvPT_PKS3_llll,comdat
.Lfunc_end46:
	.size	_ZN2at6native12_GLOBAL__N_130reflection_pad1d_backward_flatIdEEvPT_PKS3_llll, .Lfunc_end46-_ZN2at6native12_GLOBAL__N_130reflection_pad1d_backward_flatIdEEvPT_PKS3_llll
                                        ; -- End function
	.set _ZN2at6native12_GLOBAL__N_130reflection_pad1d_backward_flatIdEEvPT_PKS3_llll.num_vgpr, 18
	.set _ZN2at6native12_GLOBAL__N_130reflection_pad1d_backward_flatIdEEvPT_PKS3_llll.num_agpr, 0
	.set _ZN2at6native12_GLOBAL__N_130reflection_pad1d_backward_flatIdEEvPT_PKS3_llll.numbered_sgpr, 38
	.set _ZN2at6native12_GLOBAL__N_130reflection_pad1d_backward_flatIdEEvPT_PKS3_llll.num_named_barrier, 0
	.set _ZN2at6native12_GLOBAL__N_130reflection_pad1d_backward_flatIdEEvPT_PKS3_llll.private_seg_size, 0
	.set _ZN2at6native12_GLOBAL__N_130reflection_pad1d_backward_flatIdEEvPT_PKS3_llll.uses_vcc, 1
	.set _ZN2at6native12_GLOBAL__N_130reflection_pad1d_backward_flatIdEEvPT_PKS3_llll.uses_flat_scratch, 0
	.set _ZN2at6native12_GLOBAL__N_130reflection_pad1d_backward_flatIdEEvPT_PKS3_llll.has_dyn_sized_stack, 0
	.set _ZN2at6native12_GLOBAL__N_130reflection_pad1d_backward_flatIdEEvPT_PKS3_llll.has_recursion, 0
	.set _ZN2at6native12_GLOBAL__N_130reflection_pad1d_backward_flatIdEEvPT_PKS3_llll.has_indirect_call, 0
	.section	.AMDGPU.csdata,"",@progbits
; Kernel info:
; codeLenInByte = 1972
; TotalNumSgprs: 44
; NumVgprs: 18
; NumAgprs: 0
; TotalNumVgprs: 18
; ScratchSize: 0
; MemoryBound: 0
; FloatMode: 240
; IeeeMode: 1
; LDSByteSize: 0 bytes/workgroup (compile time only)
; SGPRBlocks: 5
; VGPRBlocks: 2
; NumSGPRsForWavesPerEU: 44
; NumVGPRsForWavesPerEU: 18
; AccumOffset: 20
; Occupancy: 8
; WaveLimiterHint : 0
; COMPUTE_PGM_RSRC2:SCRATCH_EN: 0
; COMPUTE_PGM_RSRC2:USER_SGPR: 2
; COMPUTE_PGM_RSRC2:TRAP_HANDLER: 0
; COMPUTE_PGM_RSRC2:TGID_X_EN: 1
; COMPUTE_PGM_RSRC2:TGID_Y_EN: 0
; COMPUTE_PGM_RSRC2:TGID_Z_EN: 0
; COMPUTE_PGM_RSRC2:TIDIG_COMP_CNT: 0
; COMPUTE_PGM_RSRC3_GFX90A:ACCUM_OFFSET: 4
; COMPUTE_PGM_RSRC3_GFX90A:TG_SPLIT: 0
	.section	.text._ZN2at6native12_GLOBAL__N_136reflection_pad1d_backward_out_kernelIfEEvPT_PKS3_lll,"axG",@progbits,_ZN2at6native12_GLOBAL__N_136reflection_pad1d_backward_out_kernelIfEEvPT_PKS3_lll,comdat
	.globl	_ZN2at6native12_GLOBAL__N_136reflection_pad1d_backward_out_kernelIfEEvPT_PKS3_lll ; -- Begin function _ZN2at6native12_GLOBAL__N_136reflection_pad1d_backward_out_kernelIfEEvPT_PKS3_lll
	.p2align	8
	.type	_ZN2at6native12_GLOBAL__N_136reflection_pad1d_backward_out_kernelIfEEvPT_PKS3_lll,@function
_ZN2at6native12_GLOBAL__N_136reflection_pad1d_backward_out_kernelIfEEvPT_PKS3_lll: ; @_ZN2at6native12_GLOBAL__N_136reflection_pad1d_backward_out_kernelIfEEvPT_PKS3_lll
; %bb.0:
	s_load_dword s5, s[0:1], 0x34
	s_load_dwordx2 s[16:17], s[0:1], 0x20
	s_load_dwordx8 s[8:15], s[0:1], 0x0
	s_add_u32 s6, s0, 40
	s_addc_u32 s7, s1, 0
	s_waitcnt lgkmcnt(0)
	s_and_b32 s0, s5, 0xffff
	v_mov_b32_e32 v1, 0
	v_mov_b32_e32 v2, s2
	s_add_u32 s2, s14, s12
	v_mad_u64_u32 v[0:1], s[0:1], s0, v2, v[0:1]
	s_addc_u32 s5, s15, s13
	s_add_u32 s0, s2, s16
	s_addc_u32 s1, s5, s17
	v_cmp_gt_i64_e32 vcc, s[0:1], v[0:1]
	s_and_saveexec_b64 s[16:17], vcc
	s_cbranch_execz .LBB47_2
; %bb.1:
	s_load_dword s16, s[6:7], 0x4
	s_sub_u32 s6, 0, s14
	s_subb_u32 s7, 0, s15
	v_cmp_gt_i64_e64 s[18:19], s[6:7], 0
	v_mov_b32_e32 v4, s15
	s_waitcnt lgkmcnt(0)
	s_mul_i32 s4, s16, s4
	s_add_i32 s4, s4, s3
	s_mul_i32 s3, s13, s4
	s_mul_hi_u32 s13, s12, s4
	s_mul_i32 s16, s1, s4
	s_add_i32 s1, s13, s3
	s_mul_hi_u32 s3, s0, s4
	s_add_i32 s17, s3, s16
	s_and_b64 s[18:19], s[18:19], exec
	s_mul_i32 s16, s0, s4
	s_cselect_b32 s0, s7, 0
	s_cselect_b32 s3, s6, 0
	v_cmp_gt_i64_e64 s[6:7], s[14:15], 0
	s_and_b64 s[6:7], s[6:7], exec
	s_cselect_b32 s7, s15, 0
	s_cselect_b32 s6, s14, 0
	s_add_u32 s13, s2, s14
	s_addc_u32 s18, s5, s15
	s_not_b64 s[6:7], s[6:7]
	s_add_u32 s6, s13, s6
	s_addc_u32 s7, s18, s7
	s_add_u32 s3, s6, s3
	s_addc_u32 s13, s7, s0
	s_lshl_b64 s[6:7], s[16:17], 2
	s_add_u32 s6, s10, s6
	s_addc_u32 s7, s11, s7
	v_lshl_add_u64 v[2:3], v[0:1], 2, s[6:7]
	global_load_dword v8, v[2:3], off
	v_subrev_co_u32_e32 v5, vcc, s14, v0
	v_mov_b32_e32 v2, s8
	s_nop 0
	v_subb_co_u32_e32 v4, vcc, v1, v4, vcc
	v_ashrrev_i32_e32 v6, 31, v4
	v_xor_b32_e32 v7, v4, v6
	v_xor_b32_e32 v4, v5, v6
	v_sub_co_u32_e32 v4, vcc, v4, v6
	v_mov_b32_e32 v3, s9
	s_nop 0
	v_subb_co_u32_e32 v5, vcc, v7, v6, vcc
	v_mov_b32_e32 v7, s5
	v_subrev_co_u32_e32 v6, vcc, s2, v0
	s_mul_i32 s0, s12, s4
	s_nop 0
	v_subb_co_u32_e32 v7, vcc, v1, v7, vcc
	v_lshl_add_u64 v[6:7], v[6:7], 0, 1
	v_ashrrev_i32_e32 v9, 31, v7
	v_xor_b32_e32 v6, v6, v9
	v_xor_b32_e32 v7, v7, v9
	v_sub_co_u32_e32 v6, vcc, v6, v9
	s_nop 1
	v_subb_co_u32_e32 v7, vcc, v7, v9, vcc
	v_lshl_add_u64 v[0:1], v[0:1], 0, v[6:7]
	v_mov_b32_e32 v6, s13
	v_sub_co_u32_e32 v0, vcc, s3, v0
	s_nop 1
	v_subb_co_u32_e32 v1, vcc, v6, v1, vcc
	v_lshl_add_u64 v[0:1], v[0:1], 2, v[2:3]
	v_lshl_add_u64 v[0:1], v[4:5], 2, v[0:1]
	;; [unrolled: 1-line block ×3, first 2 shown]
	s_waitcnt vmcnt(0)
	global_atomic_add_f32 v[0:1], v8, off
.LBB47_2:
	s_endpgm
	.section	.rodata,"a",@progbits
	.p2align	6, 0x0
	.amdhsa_kernel _ZN2at6native12_GLOBAL__N_136reflection_pad1d_backward_out_kernelIfEEvPT_PKS3_lll
		.amdhsa_group_segment_fixed_size 0
		.amdhsa_private_segment_fixed_size 0
		.amdhsa_kernarg_size 296
		.amdhsa_user_sgpr_count 2
		.amdhsa_user_sgpr_dispatch_ptr 0
		.amdhsa_user_sgpr_queue_ptr 0
		.amdhsa_user_sgpr_kernarg_segment_ptr 1
		.amdhsa_user_sgpr_dispatch_id 0
		.amdhsa_user_sgpr_kernarg_preload_length 0
		.amdhsa_user_sgpr_kernarg_preload_offset 0
		.amdhsa_user_sgpr_private_segment_size 0
		.amdhsa_uses_dynamic_stack 0
		.amdhsa_enable_private_segment 0
		.amdhsa_system_sgpr_workgroup_id_x 1
		.amdhsa_system_sgpr_workgroup_id_y 1
		.amdhsa_system_sgpr_workgroup_id_z 1
		.amdhsa_system_sgpr_workgroup_info 0
		.amdhsa_system_vgpr_workitem_id 0
		.amdhsa_next_free_vgpr 10
		.amdhsa_next_free_sgpr 20
		.amdhsa_accum_offset 12
		.amdhsa_reserve_vcc 1
		.amdhsa_float_round_mode_32 0
		.amdhsa_float_round_mode_16_64 0
		.amdhsa_float_denorm_mode_32 3
		.amdhsa_float_denorm_mode_16_64 3
		.amdhsa_dx10_clamp 1
		.amdhsa_ieee_mode 1
		.amdhsa_fp16_overflow 0
		.amdhsa_tg_split 0
		.amdhsa_exception_fp_ieee_invalid_op 0
		.amdhsa_exception_fp_denorm_src 0
		.amdhsa_exception_fp_ieee_div_zero 0
		.amdhsa_exception_fp_ieee_overflow 0
		.amdhsa_exception_fp_ieee_underflow 0
		.amdhsa_exception_fp_ieee_inexact 0
		.amdhsa_exception_int_div_zero 0
	.end_amdhsa_kernel
	.section	.text._ZN2at6native12_GLOBAL__N_136reflection_pad1d_backward_out_kernelIfEEvPT_PKS3_lll,"axG",@progbits,_ZN2at6native12_GLOBAL__N_136reflection_pad1d_backward_out_kernelIfEEvPT_PKS3_lll,comdat
.Lfunc_end47:
	.size	_ZN2at6native12_GLOBAL__N_136reflection_pad1d_backward_out_kernelIfEEvPT_PKS3_lll, .Lfunc_end47-_ZN2at6native12_GLOBAL__N_136reflection_pad1d_backward_out_kernelIfEEvPT_PKS3_lll
                                        ; -- End function
	.set _ZN2at6native12_GLOBAL__N_136reflection_pad1d_backward_out_kernelIfEEvPT_PKS3_lll.num_vgpr, 10
	.set _ZN2at6native12_GLOBAL__N_136reflection_pad1d_backward_out_kernelIfEEvPT_PKS3_lll.num_agpr, 0
	.set _ZN2at6native12_GLOBAL__N_136reflection_pad1d_backward_out_kernelIfEEvPT_PKS3_lll.numbered_sgpr, 20
	.set _ZN2at6native12_GLOBAL__N_136reflection_pad1d_backward_out_kernelIfEEvPT_PKS3_lll.num_named_barrier, 0
	.set _ZN2at6native12_GLOBAL__N_136reflection_pad1d_backward_out_kernelIfEEvPT_PKS3_lll.private_seg_size, 0
	.set _ZN2at6native12_GLOBAL__N_136reflection_pad1d_backward_out_kernelIfEEvPT_PKS3_lll.uses_vcc, 1
	.set _ZN2at6native12_GLOBAL__N_136reflection_pad1d_backward_out_kernelIfEEvPT_PKS3_lll.uses_flat_scratch, 0
	.set _ZN2at6native12_GLOBAL__N_136reflection_pad1d_backward_out_kernelIfEEvPT_PKS3_lll.has_dyn_sized_stack, 0
	.set _ZN2at6native12_GLOBAL__N_136reflection_pad1d_backward_out_kernelIfEEvPT_PKS3_lll.has_recursion, 0
	.set _ZN2at6native12_GLOBAL__N_136reflection_pad1d_backward_out_kernelIfEEvPT_PKS3_lll.has_indirect_call, 0
	.section	.AMDGPU.csdata,"",@progbits
; Kernel info:
; codeLenInByte = 404
; TotalNumSgprs: 26
; NumVgprs: 10
; NumAgprs: 0
; TotalNumVgprs: 10
; ScratchSize: 0
; MemoryBound: 0
; FloatMode: 240
; IeeeMode: 1
; LDSByteSize: 0 bytes/workgroup (compile time only)
; SGPRBlocks: 3
; VGPRBlocks: 1
; NumSGPRsForWavesPerEU: 26
; NumVGPRsForWavesPerEU: 10
; AccumOffset: 12
; Occupancy: 8
; WaveLimiterHint : 0
; COMPUTE_PGM_RSRC2:SCRATCH_EN: 0
; COMPUTE_PGM_RSRC2:USER_SGPR: 2
; COMPUTE_PGM_RSRC2:TRAP_HANDLER: 0
; COMPUTE_PGM_RSRC2:TGID_X_EN: 1
; COMPUTE_PGM_RSRC2:TGID_Y_EN: 1
; COMPUTE_PGM_RSRC2:TGID_Z_EN: 1
; COMPUTE_PGM_RSRC2:TIDIG_COMP_CNT: 0
; COMPUTE_PGM_RSRC3_GFX90A:ACCUM_OFFSET: 2
; COMPUTE_PGM_RSRC3_GFX90A:TG_SPLIT: 0
	.section	.text._ZN2at6native12_GLOBAL__N_130reflection_pad1d_backward_flatIfEEvPT_PKS3_llll,"axG",@progbits,_ZN2at6native12_GLOBAL__N_130reflection_pad1d_backward_flatIfEEvPT_PKS3_llll,comdat
	.globl	_ZN2at6native12_GLOBAL__N_130reflection_pad1d_backward_flatIfEEvPT_PKS3_llll ; -- Begin function _ZN2at6native12_GLOBAL__N_130reflection_pad1d_backward_flatIfEEvPT_PKS3_llll
	.p2align	8
	.type	_ZN2at6native12_GLOBAL__N_130reflection_pad1d_backward_flatIfEEvPT_PKS3_llll,@function
_ZN2at6native12_GLOBAL__N_130reflection_pad1d_backward_flatIfEEvPT_PKS3_llll: ; @_ZN2at6native12_GLOBAL__N_130reflection_pad1d_backward_flatIfEEvPT_PKS3_llll
; %bb.0:
	s_load_dword s3, s[0:1], 0x3c
	s_load_dwordx8 s[4:11], s[0:1], 0x10
	s_add_u32 s16, s0, 48
	v_mov_b32_e32 v2, 0
	s_addc_u32 s17, s1, 0
	s_waitcnt lgkmcnt(0)
	s_and_b32 s3, s3, 0xffff
	s_mul_i32 s12, s10, s9
	s_mul_hi_u32 s13, s10, s8
	v_mov_b32_e32 v1, v2
	s_add_i32 s12, s13, s12
	s_mul_i32 s11, s11, s8
	v_mov_b32_e32 v3, s2
	s_add_i32 s11, s12, s11
	s_mul_i32 s10, s10, s8
	v_mad_u64_u32 v[0:1], s[12:13], s3, v3, v[0:1]
	v_cmp_gt_i64_e32 vcc, s[10:11], v[0:1]
	s_and_saveexec_b64 s[12:13], vcc
	s_cbranch_execz .LBB48_13
; %bb.1:
	v_cvt_f32_u32_e32 v3, s8
	s_load_dword s2, s[16:17], 0x0
	s_load_dwordx4 s[12:15], s[0:1], 0x0
	s_lshl_b64 s[0:1], s[4:5], 1
	s_add_u32 s16, s0, -2
	v_rcp_iflag_f32_e32 v3, v3
	s_addc_u32 s17, s1, -1
	s_sub_u32 s30, 0, s8
	s_subb_u32 s31, 0, s9
	v_mul_f32_e32 v3, 0x4f7ffffe, v3
	v_cvt_u32_f32_e32 v12, v3
	s_waitcnt lgkmcnt(0)
	s_mul_hi_u32 s19, s3, s2
	s_mul_i32 s18, s3, s2
	s_sub_u32 s6, 0, s6
	s_mov_b64 s[20:21], 0
	s_subb_u32 s7, 0, s7
	v_lshl_add_u64 v[4:5], v[0:1], 2, s[14:15]
	s_lshl_b64 s[14:15], s[18:19], 2
	s_ashr_i32 s22, s9, 31
	v_cmp_gt_i64_e64 s[24:25], s[16:17], 0
	s_branch .LBB48_4
.LBB48_2:                               ;   in Loop: Header=BB48_4 Depth=1
	s_or_b64 exec, exec, s[0:1]
	v_ashrrev_i32_e32 v3, 31, v11
	v_and_b32_e32 v9, s17, v3
	v_and_b32_e32 v8, s16, v3
	v_lshl_add_u64 v[8:9], v[8:9], 0, v[10:11]
	v_mov_b32_e32 v3, s17
	v_sub_co_u32_e32 v10, vcc, s16, v8
	s_nop 1
	v_subb_co_u32_e32 v3, vcc, v3, v9, vcc
	v_cmp_gt_i64_e32 vcc, s[4:5], v[8:9]
	s_nop 1
	v_cndmask_b32_e32 v9, v3, v9, vcc
	v_cndmask_b32_e32 v8, v10, v8, vcc
.LBB48_3:                               ;   in Loop: Header=BB48_4 Depth=1
	global_load_dword v3, v[4:5], off
	v_mul_lo_u32 v10, v7, s4
	v_mul_lo_u32 v11, v6, s5
	v_mad_u64_u32 v[6:7], s[0:1], v6, s4, 0
	v_add3_u32 v7, v7, v11, v10
	v_lshl_add_u64 v[6:7], v[6:7], 2, s[12:13]
	v_lshl_add_u64 v[6:7], v[8:9], 2, v[6:7]
	;; [unrolled: 1-line block ×3, first 2 shown]
	v_cmp_le_i64_e32 vcc, s[10:11], v[0:1]
	s_or_b64 s[20:21], vcc, s[20:21]
	v_lshl_add_u64 v[4:5], v[4:5], 0, s[14:15]
	s_waitcnt vmcnt(0)
	global_atomic_add_f32 v[6:7], v3, off
	s_andn2_b64 exec, exec, s[20:21]
	s_cbranch_execz .LBB48_13
.LBB48_4:                               ; =>This Inner Loop Header: Depth=1
	v_or_b32_e32 v3, s9, v1
	v_cmp_ne_u64_e32 vcc, 0, v[2:3]
                                        ; implicit-def: $vgpr6_vgpr7
	s_and_saveexec_b64 s[0:1], vcc
	s_xor_b64 s[2:3], exec, s[0:1]
	s_cbranch_execnz .LBB48_7
; %bb.5:                                ;   in Loop: Header=BB48_4 Depth=1
	s_andn2_saveexec_b64 s[0:1], s[2:3]
	s_cbranch_execnz .LBB48_8
.LBB48_6:                               ;   in Loop: Header=BB48_4 Depth=1
	s_or_b64 exec, exec, s[0:1]
	s_andn2_b64 vcc, exec, s[24:25]
	v_mov_b64_e32 v[8:9], 0
	s_cbranch_vccnz .LBB48_3
	s_branch .LBB48_9
.LBB48_7:                               ;   in Loop: Header=BB48_4 Depth=1
	s_add_u32 s0, s8, s22
	s_mov_b32 s23, s22
	s_addc_u32 s1, s9, s22
	s_xor_b64 s[26:27], s[0:1], s[22:23]
	v_cvt_f32_u32_e32 v3, s26
	v_cvt_f32_u32_e32 v6, s27
	s_sub_u32 s23, 0, s26
	s_subb_u32 s28, 0, s27
	v_mov_b32_e32 v11, v2
	v_fmac_f32_e32 v3, 0x4f800000, v6
	v_rcp_f32_e32 v3, v3
	s_nop 0
	v_mul_f32_e32 v3, 0x5f7ffffc, v3
	v_mul_f32_e32 v6, 0x2f800000, v3
	v_trunc_f32_e32 v6, v6
	v_fmac_f32_e32 v3, 0xcf800000, v6
	v_cvt_u32_f32_e32 v6, v6
	v_cvt_u32_f32_e32 v3, v3
	v_readfirstlane_b32 s29, v6
	v_readfirstlane_b32 s0, v3
	s_mul_i32 s1, s23, s29
	s_mul_hi_u32 s34, s23, s0
	s_mul_i32 s33, s28, s0
	s_add_i32 s1, s34, s1
	s_add_i32 s1, s1, s33
	s_mul_i32 s35, s23, s0
	s_mul_i32 s34, s0, s1
	s_mul_hi_u32 s36, s0, s35
	s_mul_hi_u32 s33, s0, s1
	s_add_u32 s34, s36, s34
	s_addc_u32 s33, 0, s33
	s_mul_hi_u32 s37, s29, s35
	s_mul_i32 s35, s29, s35
	s_add_u32 s34, s34, s35
	s_mul_hi_u32 s36, s29, s1
	s_addc_u32 s33, s33, s37
	s_addc_u32 s34, s36, 0
	s_mul_i32 s1, s29, s1
	s_add_u32 s1, s33, s1
	s_addc_u32 s33, 0, s34
	s_add_u32 s34, s0, s1
	s_cselect_b64 s[0:1], -1, 0
	s_cmp_lg_u64 s[0:1], 0
	s_addc_u32 s29, s29, s33
	s_mul_i32 s0, s23, s29
	s_mul_hi_u32 s1, s23, s34
	s_add_i32 s0, s1, s0
	s_mul_i32 s28, s28, s34
	s_add_i32 s0, s0, s28
	s_mul_i32 s23, s23, s34
	s_mul_hi_u32 s28, s29, s23
	s_mul_i32 s33, s29, s23
	s_mul_i32 s36, s34, s0
	s_mul_hi_u32 s23, s34, s23
	s_mul_hi_u32 s35, s34, s0
	s_add_u32 s23, s23, s36
	s_addc_u32 s35, 0, s35
	s_add_u32 s23, s23, s33
	s_mul_hi_u32 s1, s29, s0
	s_addc_u32 s23, s35, s28
	s_addc_u32 s1, s1, 0
	s_mul_i32 s0, s29, s0
	s_add_u32 s0, s23, s0
	s_addc_u32 s23, 0, s1
	s_add_u32 s28, s34, s0
	v_ashrrev_i32_e32 v6, 31, v1
	s_cselect_b64 s[0:1], -1, 0
	v_mov_b32_e32 v7, v6
	s_cmp_lg_u64 s[0:1], 0
	v_lshl_add_u64 v[8:9], v[0:1], 0, v[6:7]
	s_addc_u32 s23, s29, s23
	v_xor_b32_e32 v7, v8, v6
	v_xor_b32_e32 v3, v9, v6
	v_mad_u64_u32 v[8:9], s[0:1], v7, s23, 0
	v_mul_hi_u32 v10, v7, s28
	v_lshl_add_u64 v[8:9], v[10:11], 0, v[8:9]
	v_mad_u64_u32 v[14:15], s[0:1], v3, s28, 0
	v_add_co_u32_e32 v8, vcc, v8, v14
	v_mad_u64_u32 v[10:11], s[0:1], v3, s23, 0
	s_nop 0
	v_addc_co_u32_e32 v8, vcc, v9, v15, vcc
	v_mov_b32_e32 v9, v2
	s_nop 0
	v_addc_co_u32_e32 v11, vcc, 0, v11, vcc
	v_lshl_add_u64 v[8:9], v[8:9], 0, v[10:11]
	v_mul_lo_u32 v13, s27, v8
	v_mul_lo_u32 v14, s26, v9
	v_mad_u64_u32 v[10:11], s[0:1], s26, v8, 0
	v_add3_u32 v13, v11, v14, v13
	v_sub_u32_e32 v11, v3, v13
	v_mov_b32_e32 v14, s27
	v_sub_co_u32_e32 v7, vcc, v7, v10
	s_nop 1
	v_subb_co_u32_e64 v10, s[0:1], v11, v14, vcc
	v_subrev_co_u32_e64 v11, s[0:1], s26, v7
	v_subb_co_u32_e32 v3, vcc, v3, v13, vcc
	s_nop 0
	v_subbrev_co_u32_e64 v10, s[0:1], 0, v10, s[0:1]
	v_cmp_le_u32_e64 s[0:1], s27, v10
	v_cmp_le_u32_e32 vcc, s27, v3
	s_nop 0
	v_cndmask_b32_e64 v14, 0, -1, s[0:1]
	v_cmp_le_u32_e64 s[0:1], s26, v11
	v_cndmask_b32_e64 v13, 0, -1, vcc
	v_cmp_le_u32_e32 vcc, s26, v7
	v_cndmask_b32_e64 v11, 0, -1, s[0:1]
	v_cmp_eq_u32_e64 s[0:1], s27, v10
	v_cndmask_b32_e64 v7, 0, -1, vcc
	v_cmp_eq_u32_e32 vcc, s27, v3
	v_cndmask_b32_e64 v16, v14, v11, s[0:1]
	v_lshl_add_u64 v[10:11], v[8:9], 0, 2
	v_lshl_add_u64 v[14:15], v[8:9], 0, 1
	v_cmp_ne_u32_e64 s[0:1], 0, v16
	v_cndmask_b32_e32 v3, v13, v7, vcc
	v_cmp_ne_u32_e32 vcc, 0, v3
	v_cndmask_b32_e64 v7, v14, v10, s[0:1]
	v_cndmask_b32_e64 v11, v15, v11, s[0:1]
	v_cndmask_b32_e32 v7, v8, v7, vcc
	v_xor_b32_e32 v8, s22, v6
	v_cndmask_b32_e32 v3, v9, v11, vcc
	v_xor_b32_e32 v6, v7, v8
	v_xor_b32_e32 v3, v3, v8
	v_sub_co_u32_e32 v6, vcc, v6, v8
	s_nop 1
	v_subb_co_u32_e32 v7, vcc, v3, v8, vcc
	s_andn2_saveexec_b64 s[0:1], s[2:3]
	s_cbranch_execz .LBB48_6
.LBB48_8:                               ;   in Loop: Header=BB48_4 Depth=1
	s_sub_i32 s2, 0, s8
	v_mul_lo_u32 v3, s2, v12
	v_mul_hi_u32 v3, v12, v3
	v_add_u32_e32 v3, v12, v3
	v_mul_hi_u32 v3, v0, v3
	v_mul_lo_u32 v6, v3, s8
	v_sub_u32_e32 v6, v0, v6
	v_subrev_u32_e32 v7, s8, v6
	v_cmp_le_u32_e32 vcc, s8, v6
	s_nop 1
	v_cndmask_b32_e32 v6, v6, v7, vcc
	v_add_u32_e32 v7, 1, v3
	v_cndmask_b32_e32 v3, v3, v7, vcc
	v_add_u32_e32 v7, 1, v3
	v_cmp_le_u32_e32 vcc, s8, v6
	s_nop 1
	v_cndmask_b32_e32 v6, v3, v7, vcc
	v_mov_b32_e32 v7, v2
	s_or_b64 exec, exec, s[0:1]
	s_andn2_b64 vcc, exec, s[24:25]
	v_mov_b64_e32 v[8:9], 0
	s_cbranch_vccnz .LBB48_3
.LBB48_9:                               ;   in Loop: Header=BB48_4 Depth=1
	v_lshl_add_u64 v[8:9], s[6:7], 0, v[0:1]
	v_mul_lo_u32 v3, s30, v7
	v_mul_lo_u32 v10, s31, v6
	v_mad_u64_u32 v[8:9], s[0:1], s30, v6, v[8:9]
	v_add3_u32 v9, v10, v9, v3
	v_or_b32_e32 v3, s17, v9
	v_cmp_ne_u64_e32 vcc, 0, v[2:3]
                                        ; implicit-def: $vgpr10_vgpr11
	s_and_saveexec_b64 s[0:1], vcc
	s_xor_b64 s[26:27], exec, s[0:1]
	s_cbranch_execz .LBB48_11
; %bb.10:                               ;   in Loop: Header=BB48_4 Depth=1
	s_ashr_i32 s0, s17, 31
	s_add_u32 s2, s16, s0
	s_mov_b32 s1, s0
	s_addc_u32 s3, s17, s0
	s_xor_b64 s[28:29], s[2:3], s[0:1]
	v_cvt_f32_u32_e32 v3, s28
	v_cvt_f32_u32_e32 v10, s29
	s_sub_u32 s2, 0, s28
	s_subb_u32 s3, 0, s29
	v_ashrrev_i32_e32 v14, 31, v9
	v_fmac_f32_e32 v3, 0x4f800000, v10
	v_rcp_f32_e32 v3, v3
	v_mov_b32_e32 v15, v14
	v_lshl_add_u64 v[8:9], v[8:9], 0, v[14:15]
	v_xor_b32_e32 v13, v8, v14
	v_mul_f32_e32 v3, 0x5f7ffffc, v3
	v_mul_f32_e32 v10, 0x2f800000, v3
	v_trunc_f32_e32 v10, v10
	v_fmac_f32_e32 v3, 0xcf800000, v10
	v_cvt_u32_f32_e32 v10, v10
	v_cvt_u32_f32_e32 v3, v3
	v_mov_b32_e32 v11, v2
	v_readfirstlane_b32 s23, v10
	v_readfirstlane_b32 s0, v3
	s_mul_i32 s1, s2, s23
	s_mul_hi_u32 s34, s2, s0
	s_mul_i32 s33, s3, s0
	s_add_i32 s1, s34, s1
	s_add_i32 s1, s1, s33
	s_mul_i32 s35, s2, s0
	s_mul_i32 s34, s0, s1
	s_mul_hi_u32 s36, s0, s35
	s_mul_hi_u32 s33, s0, s1
	s_add_u32 s34, s36, s34
	s_addc_u32 s33, 0, s33
	s_mul_hi_u32 s37, s23, s35
	s_mul_i32 s35, s23, s35
	s_add_u32 s34, s34, s35
	s_mul_hi_u32 s36, s23, s1
	s_addc_u32 s33, s33, s37
	s_addc_u32 s34, s36, 0
	s_mul_i32 s1, s23, s1
	s_add_u32 s1, s33, s1
	s_addc_u32 s33, 0, s34
	s_add_u32 s34, s0, s1
	s_cselect_b64 s[0:1], -1, 0
	s_cmp_lg_u64 s[0:1], 0
	s_addc_u32 s23, s23, s33
	s_mul_i32 s0, s2, s23
	s_mul_hi_u32 s1, s2, s34
	s_add_i32 s0, s1, s0
	s_mul_i32 s3, s3, s34
	s_add_i32 s0, s0, s3
	s_mul_i32 s2, s2, s34
	s_mul_hi_u32 s3, s23, s2
	s_mul_i32 s33, s23, s2
	s_mul_i32 s36, s34, s0
	s_mul_hi_u32 s2, s34, s2
	s_mul_hi_u32 s35, s34, s0
	s_add_u32 s2, s2, s36
	s_addc_u32 s35, 0, s35
	s_add_u32 s2, s2, s33
	s_mul_hi_u32 s1, s23, s0
	s_addc_u32 s2, s35, s3
	s_addc_u32 s1, s1, 0
	s_mul_i32 s0, s23, s0
	s_add_u32 s0, s2, s0
	s_addc_u32 s2, 0, s1
	s_add_u32 s3, s34, s0
	s_cselect_b64 s[0:1], -1, 0
	s_cmp_lg_u64 s[0:1], 0
	s_addc_u32 s2, s23, s2
	v_xor_b32_e32 v3, v9, v14
	v_mad_u64_u32 v[8:9], s[0:1], v13, s2, 0
	v_mul_hi_u32 v10, v13, s3
	v_lshl_add_u64 v[8:9], v[10:11], 0, v[8:9]
	v_mad_u64_u32 v[16:17], s[0:1], v3, s3, 0
	v_add_co_u32_e32 v8, vcc, v8, v16
	v_mad_u64_u32 v[10:11], s[0:1], v3, s2, 0
	s_nop 0
	v_addc_co_u32_e32 v8, vcc, v9, v17, vcc
	v_mov_b32_e32 v9, v2
	s_nop 0
	v_addc_co_u32_e32 v11, vcc, 0, v11, vcc
	v_lshl_add_u64 v[8:9], v[8:9], 0, v[10:11]
	v_mul_lo_u32 v10, s29, v8
	v_mul_lo_u32 v11, s28, v9
	v_mad_u64_u32 v[8:9], s[0:1], s28, v8, 0
	v_add3_u32 v9, v9, v11, v10
	v_sub_u32_e32 v10, v3, v9
	v_mov_b32_e32 v11, s29
	v_sub_co_u32_e32 v8, vcc, v13, v8
	s_nop 1
	v_subb_co_u32_e64 v10, s[0:1], v10, v11, vcc
	v_subrev_co_u32_e64 v13, s[0:1], s28, v8
	v_subb_co_u32_e32 v3, vcc, v3, v9, vcc
	s_nop 0
	v_subbrev_co_u32_e64 v15, s[2:3], 0, v10, s[0:1]
	v_cmp_le_u32_e64 s[2:3], s29, v15
	v_subb_co_u32_e64 v10, s[0:1], v10, v11, s[0:1]
	s_nop 0
	v_cndmask_b32_e64 v16, 0, -1, s[2:3]
	v_cmp_le_u32_e64 s[2:3], s28, v13
	v_subrev_co_u32_e64 v11, s[0:1], s28, v13
	s_nop 0
	v_cndmask_b32_e64 v17, 0, -1, s[2:3]
	v_cmp_eq_u32_e64 s[2:3], s29, v15
	v_subbrev_co_u32_e64 v10, s[0:1], 0, v10, s[0:1]
	s_nop 0
	v_cndmask_b32_e64 v16, v16, v17, s[2:3]
	v_cmp_le_u32_e32 vcc, s29, v3
	v_cmp_ne_u32_e64 s[0:1], 0, v16
	s_nop 0
	v_cndmask_b32_e64 v9, 0, -1, vcc
	v_cmp_le_u32_e32 vcc, s28, v8
	v_cndmask_b32_e64 v10, v15, v10, s[0:1]
	s_nop 0
	v_cndmask_b32_e64 v15, 0, -1, vcc
	v_cmp_eq_u32_e32 vcc, s29, v3
	s_nop 1
	v_cndmask_b32_e32 v9, v9, v15, vcc
	v_cmp_ne_u32_e32 vcc, 0, v9
	v_cndmask_b32_e64 v9, v13, v11, s[0:1]
	s_nop 0
	v_cndmask_b32_e32 v8, v8, v9, vcc
	v_cndmask_b32_e32 v3, v3, v10, vcc
	v_xor_b32_e32 v8, v8, v14
	v_xor_b32_e32 v3, v3, v14
	v_sub_co_u32_e32 v10, vcc, v8, v14
                                        ; implicit-def: $vgpr8_vgpr9
	s_nop 1
	v_subb_co_u32_e32 v11, vcc, v3, v14, vcc
.LBB48_11:                              ;   in Loop: Header=BB48_4 Depth=1
	s_andn2_saveexec_b64 s[0:1], s[26:27]
	s_cbranch_execz .LBB48_2
; %bb.12:                               ;   in Loop: Header=BB48_4 Depth=1
	v_cvt_f32_u32_e32 v3, s16
	s_sub_i32 s2, 0, s16
	v_mov_b32_e32 v11, v2
	v_rcp_iflag_f32_e32 v3, v3
	s_nop 0
	v_mul_f32_e32 v3, 0x4f7ffffe, v3
	v_cvt_u32_f32_e32 v3, v3
	v_mul_lo_u32 v9, s2, v3
	v_mul_hi_u32 v9, v3, v9
	v_add_u32_e32 v3, v3, v9
	v_mul_hi_u32 v3, v8, v3
	v_mul_lo_u32 v3, v3, s16
	v_sub_u32_e32 v3, v8, v3
	v_subrev_u32_e32 v8, s16, v3
	v_cmp_le_u32_e32 vcc, s16, v3
	s_nop 1
	v_cndmask_b32_e32 v3, v3, v8, vcc
	v_subrev_u32_e32 v8, s16, v3
	v_cmp_le_u32_e32 vcc, s16, v3
	s_nop 1
	v_cndmask_b32_e32 v10, v3, v8, vcc
	s_branch .LBB48_2
.LBB48_13:
	s_endpgm
	.section	.rodata,"a",@progbits
	.p2align	6, 0x0
	.amdhsa_kernel _ZN2at6native12_GLOBAL__N_130reflection_pad1d_backward_flatIfEEvPT_PKS3_llll
		.amdhsa_group_segment_fixed_size 0
		.amdhsa_private_segment_fixed_size 0
		.amdhsa_kernarg_size 304
		.amdhsa_user_sgpr_count 2
		.amdhsa_user_sgpr_dispatch_ptr 0
		.amdhsa_user_sgpr_queue_ptr 0
		.amdhsa_user_sgpr_kernarg_segment_ptr 1
		.amdhsa_user_sgpr_dispatch_id 0
		.amdhsa_user_sgpr_kernarg_preload_length 0
		.amdhsa_user_sgpr_kernarg_preload_offset 0
		.amdhsa_user_sgpr_private_segment_size 0
		.amdhsa_uses_dynamic_stack 0
		.amdhsa_enable_private_segment 0
		.amdhsa_system_sgpr_workgroup_id_x 1
		.amdhsa_system_sgpr_workgroup_id_y 0
		.amdhsa_system_sgpr_workgroup_id_z 0
		.amdhsa_system_sgpr_workgroup_info 0
		.amdhsa_system_vgpr_workitem_id 0
		.amdhsa_next_free_vgpr 18
		.amdhsa_next_free_sgpr 38
		.amdhsa_accum_offset 20
		.amdhsa_reserve_vcc 1
		.amdhsa_float_round_mode_32 0
		.amdhsa_float_round_mode_16_64 0
		.amdhsa_float_denorm_mode_32 3
		.amdhsa_float_denorm_mode_16_64 3
		.amdhsa_dx10_clamp 1
		.amdhsa_ieee_mode 1
		.amdhsa_fp16_overflow 0
		.amdhsa_tg_split 0
		.amdhsa_exception_fp_ieee_invalid_op 0
		.amdhsa_exception_fp_denorm_src 0
		.amdhsa_exception_fp_ieee_div_zero 0
		.amdhsa_exception_fp_ieee_overflow 0
		.amdhsa_exception_fp_ieee_underflow 0
		.amdhsa_exception_fp_ieee_inexact 0
		.amdhsa_exception_int_div_zero 0
	.end_amdhsa_kernel
	.section	.text._ZN2at6native12_GLOBAL__N_130reflection_pad1d_backward_flatIfEEvPT_PKS3_llll,"axG",@progbits,_ZN2at6native12_GLOBAL__N_130reflection_pad1d_backward_flatIfEEvPT_PKS3_llll,comdat
.Lfunc_end48:
	.size	_ZN2at6native12_GLOBAL__N_130reflection_pad1d_backward_flatIfEEvPT_PKS3_llll, .Lfunc_end48-_ZN2at6native12_GLOBAL__N_130reflection_pad1d_backward_flatIfEEvPT_PKS3_llll
                                        ; -- End function
	.set _ZN2at6native12_GLOBAL__N_130reflection_pad1d_backward_flatIfEEvPT_PKS3_llll.num_vgpr, 18
	.set _ZN2at6native12_GLOBAL__N_130reflection_pad1d_backward_flatIfEEvPT_PKS3_llll.num_agpr, 0
	.set _ZN2at6native12_GLOBAL__N_130reflection_pad1d_backward_flatIfEEvPT_PKS3_llll.numbered_sgpr, 38
	.set _ZN2at6native12_GLOBAL__N_130reflection_pad1d_backward_flatIfEEvPT_PKS3_llll.num_named_barrier, 0
	.set _ZN2at6native12_GLOBAL__N_130reflection_pad1d_backward_flatIfEEvPT_PKS3_llll.private_seg_size, 0
	.set _ZN2at6native12_GLOBAL__N_130reflection_pad1d_backward_flatIfEEvPT_PKS3_llll.uses_vcc, 1
	.set _ZN2at6native12_GLOBAL__N_130reflection_pad1d_backward_flatIfEEvPT_PKS3_llll.uses_flat_scratch, 0
	.set _ZN2at6native12_GLOBAL__N_130reflection_pad1d_backward_flatIfEEvPT_PKS3_llll.has_dyn_sized_stack, 0
	.set _ZN2at6native12_GLOBAL__N_130reflection_pad1d_backward_flatIfEEvPT_PKS3_llll.has_recursion, 0
	.set _ZN2at6native12_GLOBAL__N_130reflection_pad1d_backward_flatIfEEvPT_PKS3_llll.has_indirect_call, 0
	.section	.AMDGPU.csdata,"",@progbits
; Kernel info:
; codeLenInByte = 1972
; TotalNumSgprs: 44
; NumVgprs: 18
; NumAgprs: 0
; TotalNumVgprs: 18
; ScratchSize: 0
; MemoryBound: 0
; FloatMode: 240
; IeeeMode: 1
; LDSByteSize: 0 bytes/workgroup (compile time only)
; SGPRBlocks: 5
; VGPRBlocks: 2
; NumSGPRsForWavesPerEU: 44
; NumVGPRsForWavesPerEU: 18
; AccumOffset: 20
; Occupancy: 8
; WaveLimiterHint : 0
; COMPUTE_PGM_RSRC2:SCRATCH_EN: 0
; COMPUTE_PGM_RSRC2:USER_SGPR: 2
; COMPUTE_PGM_RSRC2:TRAP_HANDLER: 0
; COMPUTE_PGM_RSRC2:TGID_X_EN: 1
; COMPUTE_PGM_RSRC2:TGID_Y_EN: 0
; COMPUTE_PGM_RSRC2:TGID_Z_EN: 0
; COMPUTE_PGM_RSRC2:TIDIG_COMP_CNT: 0
; COMPUTE_PGM_RSRC3_GFX90A:ACCUM_OFFSET: 4
; COMPUTE_PGM_RSRC3_GFX90A:TG_SPLIT: 0
	.section	.text._ZN2at6native12_GLOBAL__N_136reflection_pad1d_backward_out_kernelIN3c107complexIdEEEEvPT_PKS6_lll,"axG",@progbits,_ZN2at6native12_GLOBAL__N_136reflection_pad1d_backward_out_kernelIN3c107complexIdEEEEvPT_PKS6_lll,comdat
	.globl	_ZN2at6native12_GLOBAL__N_136reflection_pad1d_backward_out_kernelIN3c107complexIdEEEEvPT_PKS6_lll ; -- Begin function _ZN2at6native12_GLOBAL__N_136reflection_pad1d_backward_out_kernelIN3c107complexIdEEEEvPT_PKS6_lll
	.p2align	8
	.type	_ZN2at6native12_GLOBAL__N_136reflection_pad1d_backward_out_kernelIN3c107complexIdEEEEvPT_PKS6_lll,@function
_ZN2at6native12_GLOBAL__N_136reflection_pad1d_backward_out_kernelIN3c107complexIdEEEEvPT_PKS6_lll: ; @_ZN2at6native12_GLOBAL__N_136reflection_pad1d_backward_out_kernelIN3c107complexIdEEEEvPT_PKS6_lll
; %bb.0:
	s_load_dword s5, s[0:1], 0x34
	s_load_dwordx2 s[16:17], s[0:1], 0x20
	s_load_dwordx8 s[8:15], s[0:1], 0x0
	s_add_u32 s6, s0, 40
	s_addc_u32 s7, s1, 0
	s_waitcnt lgkmcnt(0)
	s_and_b32 s0, s5, 0xffff
	v_mov_b32_e32 v1, 0
	v_mov_b32_e32 v2, s2
	s_add_u32 s2, s14, s12
	v_mad_u64_u32 v[0:1], s[0:1], s0, v2, v[0:1]
	s_addc_u32 s5, s15, s13
	s_add_u32 s0, s2, s16
	s_addc_u32 s1, s5, s17
	v_cmp_gt_i64_e32 vcc, s[0:1], v[0:1]
	s_and_saveexec_b64 s[16:17], vcc
	s_cbranch_execz .LBB49_2
; %bb.1:
	s_load_dword s16, s[6:7], 0x4
	s_sub_u32 s6, 0, s14
	s_subb_u32 s7, 0, s15
	v_cmp_gt_i64_e64 s[18:19], s[6:7], 0
	v_mov_b32_e32 v8, s15
	s_waitcnt lgkmcnt(0)
	s_mul_i32 s4, s16, s4
	s_add_i32 s4, s4, s3
	s_mul_i32 s3, s13, s4
	s_mul_hi_u32 s13, s12, s4
	s_mul_i32 s16, s1, s4
	s_add_i32 s1, s13, s3
	s_mul_hi_u32 s3, s0, s4
	s_add_i32 s17, s3, s16
	s_and_b64 s[18:19], s[18:19], exec
	s_mul_i32 s16, s0, s4
	s_cselect_b32 s0, s7, 0
	s_cselect_b32 s3, s6, 0
	v_cmp_gt_i64_e64 s[6:7], s[14:15], 0
	s_and_b64 s[6:7], s[6:7], exec
	s_cselect_b32 s7, s15, 0
	s_cselect_b32 s6, s14, 0
	s_add_u32 s13, s2, s14
	s_addc_u32 s18, s5, s15
	s_not_b64 s[6:7], s[6:7]
	s_add_u32 s6, s13, s6
	s_addc_u32 s7, s18, s7
	s_add_u32 s3, s6, s3
	s_addc_u32 s13, s7, s0
	s_lshl_b64 s[6:7], s[16:17], 4
	s_add_u32 s6, s10, s6
	s_addc_u32 s7, s11, s7
	v_lshl_add_u64 v[2:3], v[0:1], 4, s[6:7]
	global_load_dwordx4 v[2:5], v[2:3], off
	v_subrev_co_u32_e32 v9, vcc, s14, v0
	v_mov_b32_e32 v6, s8
	s_nop 0
	v_subb_co_u32_e32 v8, vcc, v1, v8, vcc
	v_ashrrev_i32_e32 v10, 31, v8
	v_xor_b32_e32 v11, v8, v10
	v_xor_b32_e32 v8, v9, v10
	v_sub_co_u32_e32 v8, vcc, v8, v10
	v_mov_b32_e32 v7, s9
	s_nop 0
	v_subb_co_u32_e32 v9, vcc, v11, v10, vcc
	v_mov_b32_e32 v11, s5
	v_subrev_co_u32_e32 v10, vcc, s2, v0
	s_mul_i32 s0, s12, s4
	s_nop 0
	v_subb_co_u32_e32 v11, vcc, v1, v11, vcc
	v_lshl_add_u64 v[10:11], v[10:11], 0, 1
	v_ashrrev_i32_e32 v12, 31, v11
	v_xor_b32_e32 v10, v10, v12
	v_xor_b32_e32 v11, v11, v12
	v_sub_co_u32_e32 v10, vcc, v10, v12
	s_nop 1
	v_subb_co_u32_e32 v11, vcc, v11, v12, vcc
	v_lshl_add_u64 v[0:1], v[0:1], 0, v[10:11]
	v_mov_b32_e32 v10, s13
	v_sub_co_u32_e32 v0, vcc, s3, v0
	s_nop 1
	v_subb_co_u32_e32 v1, vcc, v10, v1, vcc
	v_lshl_add_u64 v[0:1], v[0:1], 4, v[6:7]
	v_lshl_add_u64 v[0:1], v[8:9], 4, v[0:1]
	;; [unrolled: 1-line block ×3, first 2 shown]
	s_waitcnt vmcnt(0)
	global_atomic_add_f64 v[0:1], v[2:3], off
	global_atomic_add_f64 v[0:1], v[4:5], off offset:8
.LBB49_2:
	s_endpgm
	.section	.rodata,"a",@progbits
	.p2align	6, 0x0
	.amdhsa_kernel _ZN2at6native12_GLOBAL__N_136reflection_pad1d_backward_out_kernelIN3c107complexIdEEEEvPT_PKS6_lll
		.amdhsa_group_segment_fixed_size 0
		.amdhsa_private_segment_fixed_size 0
		.amdhsa_kernarg_size 296
		.amdhsa_user_sgpr_count 2
		.amdhsa_user_sgpr_dispatch_ptr 0
		.amdhsa_user_sgpr_queue_ptr 0
		.amdhsa_user_sgpr_kernarg_segment_ptr 1
		.amdhsa_user_sgpr_dispatch_id 0
		.amdhsa_user_sgpr_kernarg_preload_length 0
		.amdhsa_user_sgpr_kernarg_preload_offset 0
		.amdhsa_user_sgpr_private_segment_size 0
		.amdhsa_uses_dynamic_stack 0
		.amdhsa_enable_private_segment 0
		.amdhsa_system_sgpr_workgroup_id_x 1
		.amdhsa_system_sgpr_workgroup_id_y 1
		.amdhsa_system_sgpr_workgroup_id_z 1
		.amdhsa_system_sgpr_workgroup_info 0
		.amdhsa_system_vgpr_workitem_id 0
		.amdhsa_next_free_vgpr 13
		.amdhsa_next_free_sgpr 20
		.amdhsa_accum_offset 16
		.amdhsa_reserve_vcc 1
		.amdhsa_float_round_mode_32 0
		.amdhsa_float_round_mode_16_64 0
		.amdhsa_float_denorm_mode_32 3
		.amdhsa_float_denorm_mode_16_64 3
		.amdhsa_dx10_clamp 1
		.amdhsa_ieee_mode 1
		.amdhsa_fp16_overflow 0
		.amdhsa_tg_split 0
		.amdhsa_exception_fp_ieee_invalid_op 0
		.amdhsa_exception_fp_denorm_src 0
		.amdhsa_exception_fp_ieee_div_zero 0
		.amdhsa_exception_fp_ieee_overflow 0
		.amdhsa_exception_fp_ieee_underflow 0
		.amdhsa_exception_fp_ieee_inexact 0
		.amdhsa_exception_int_div_zero 0
	.end_amdhsa_kernel
	.section	.text._ZN2at6native12_GLOBAL__N_136reflection_pad1d_backward_out_kernelIN3c107complexIdEEEEvPT_PKS6_lll,"axG",@progbits,_ZN2at6native12_GLOBAL__N_136reflection_pad1d_backward_out_kernelIN3c107complexIdEEEEvPT_PKS6_lll,comdat
.Lfunc_end49:
	.size	_ZN2at6native12_GLOBAL__N_136reflection_pad1d_backward_out_kernelIN3c107complexIdEEEEvPT_PKS6_lll, .Lfunc_end49-_ZN2at6native12_GLOBAL__N_136reflection_pad1d_backward_out_kernelIN3c107complexIdEEEEvPT_PKS6_lll
                                        ; -- End function
	.set _ZN2at6native12_GLOBAL__N_136reflection_pad1d_backward_out_kernelIN3c107complexIdEEEEvPT_PKS6_lll.num_vgpr, 13
	.set _ZN2at6native12_GLOBAL__N_136reflection_pad1d_backward_out_kernelIN3c107complexIdEEEEvPT_PKS6_lll.num_agpr, 0
	.set _ZN2at6native12_GLOBAL__N_136reflection_pad1d_backward_out_kernelIN3c107complexIdEEEEvPT_PKS6_lll.numbered_sgpr, 20
	.set _ZN2at6native12_GLOBAL__N_136reflection_pad1d_backward_out_kernelIN3c107complexIdEEEEvPT_PKS6_lll.num_named_barrier, 0
	.set _ZN2at6native12_GLOBAL__N_136reflection_pad1d_backward_out_kernelIN3c107complexIdEEEEvPT_PKS6_lll.private_seg_size, 0
	.set _ZN2at6native12_GLOBAL__N_136reflection_pad1d_backward_out_kernelIN3c107complexIdEEEEvPT_PKS6_lll.uses_vcc, 1
	.set _ZN2at6native12_GLOBAL__N_136reflection_pad1d_backward_out_kernelIN3c107complexIdEEEEvPT_PKS6_lll.uses_flat_scratch, 0
	.set _ZN2at6native12_GLOBAL__N_136reflection_pad1d_backward_out_kernelIN3c107complexIdEEEEvPT_PKS6_lll.has_dyn_sized_stack, 0
	.set _ZN2at6native12_GLOBAL__N_136reflection_pad1d_backward_out_kernelIN3c107complexIdEEEEvPT_PKS6_lll.has_recursion, 0
	.set _ZN2at6native12_GLOBAL__N_136reflection_pad1d_backward_out_kernelIN3c107complexIdEEEEvPT_PKS6_lll.has_indirect_call, 0
	.section	.AMDGPU.csdata,"",@progbits
; Kernel info:
; codeLenInByte = 412
; TotalNumSgprs: 26
; NumVgprs: 13
; NumAgprs: 0
; TotalNumVgprs: 13
; ScratchSize: 0
; MemoryBound: 0
; FloatMode: 240
; IeeeMode: 1
; LDSByteSize: 0 bytes/workgroup (compile time only)
; SGPRBlocks: 3
; VGPRBlocks: 1
; NumSGPRsForWavesPerEU: 26
; NumVGPRsForWavesPerEU: 13
; AccumOffset: 16
; Occupancy: 8
; WaveLimiterHint : 0
; COMPUTE_PGM_RSRC2:SCRATCH_EN: 0
; COMPUTE_PGM_RSRC2:USER_SGPR: 2
; COMPUTE_PGM_RSRC2:TRAP_HANDLER: 0
; COMPUTE_PGM_RSRC2:TGID_X_EN: 1
; COMPUTE_PGM_RSRC2:TGID_Y_EN: 1
; COMPUTE_PGM_RSRC2:TGID_Z_EN: 1
; COMPUTE_PGM_RSRC2:TIDIG_COMP_CNT: 0
; COMPUTE_PGM_RSRC3_GFX90A:ACCUM_OFFSET: 3
; COMPUTE_PGM_RSRC3_GFX90A:TG_SPLIT: 0
	.section	.text._ZN2at6native12_GLOBAL__N_130reflection_pad1d_backward_flatIN3c107complexIdEEEEvPT_PKS6_llll,"axG",@progbits,_ZN2at6native12_GLOBAL__N_130reflection_pad1d_backward_flatIN3c107complexIdEEEEvPT_PKS6_llll,comdat
	.globl	_ZN2at6native12_GLOBAL__N_130reflection_pad1d_backward_flatIN3c107complexIdEEEEvPT_PKS6_llll ; -- Begin function _ZN2at6native12_GLOBAL__N_130reflection_pad1d_backward_flatIN3c107complexIdEEEEvPT_PKS6_llll
	.p2align	8
	.type	_ZN2at6native12_GLOBAL__N_130reflection_pad1d_backward_flatIN3c107complexIdEEEEvPT_PKS6_llll,@function
_ZN2at6native12_GLOBAL__N_130reflection_pad1d_backward_flatIN3c107complexIdEEEEvPT_PKS6_llll: ; @_ZN2at6native12_GLOBAL__N_130reflection_pad1d_backward_flatIN3c107complexIdEEEEvPT_PKS6_llll
; %bb.0:
	s_load_dword s3, s[0:1], 0x3c
	s_load_dwordx8 s[4:11], s[0:1], 0x10
	s_add_u32 s16, s0, 48
	v_mov_b32_e32 v2, 0
	s_addc_u32 s17, s1, 0
	s_waitcnt lgkmcnt(0)
	s_and_b32 s3, s3, 0xffff
	s_mul_i32 s12, s10, s9
	s_mul_hi_u32 s13, s10, s8
	v_mov_b32_e32 v1, v2
	s_add_i32 s12, s13, s12
	s_mul_i32 s11, s11, s8
	v_mov_b32_e32 v3, s2
	s_add_i32 s11, s12, s11
	s_mul_i32 s10, s10, s8
	v_mad_u64_u32 v[0:1], s[12:13], s3, v3, v[0:1]
	v_cmp_gt_i64_e32 vcc, s[10:11], v[0:1]
	s_and_saveexec_b64 s[12:13], vcc
	s_cbranch_execz .LBB50_13
; %bb.1:
	v_cvt_f32_u32_e32 v3, s8
	s_load_dword s2, s[16:17], 0x0
	s_load_dwordx4 s[12:15], s[0:1], 0x0
	s_lshl_b64 s[0:1], s[4:5], 1
	s_add_u32 s16, s0, -2
	v_rcp_iflag_f32_e32 v3, v3
	s_addc_u32 s17, s1, -1
	s_sub_u32 s30, 0, s8
	s_subb_u32 s31, 0, s9
	v_mul_f32_e32 v3, 0x4f7ffffe, v3
	v_cvt_u32_f32_e32 v12, v3
	s_waitcnt lgkmcnt(0)
	s_mul_hi_u32 s19, s3, s2
	s_mul_i32 s18, s3, s2
	s_sub_u32 s6, 0, s6
	v_lshl_add_u64 v[4:5], v[0:1], 4, s[14:15]
	s_mov_b64 s[20:21], 0
	s_subb_u32 s7, 0, s7
	v_lshl_add_u64 v[4:5], v[4:5], 0, 8
	s_lshl_b64 s[14:15], s[18:19], 4
	s_ashr_i32 s22, s9, 31
	v_cmp_gt_i64_e64 s[24:25], s[16:17], 0
	s_branch .LBB50_4
.LBB50_2:                               ;   in Loop: Header=BB50_4 Depth=1
	s_or_b64 exec, exec, s[0:1]
	v_ashrrev_i32_e32 v3, 31, v11
	v_and_b32_e32 v9, s17, v3
	v_and_b32_e32 v8, s16, v3
	v_lshl_add_u64 v[8:9], v[8:9], 0, v[10:11]
	v_mov_b32_e32 v3, s17
	v_sub_co_u32_e32 v10, vcc, s16, v8
	s_nop 1
	v_subb_co_u32_e32 v3, vcc, v3, v9, vcc
	v_cmp_gt_i64_e32 vcc, s[4:5], v[8:9]
	s_nop 1
	v_cndmask_b32_e32 v9, v3, v9, vcc
	v_cndmask_b32_e32 v8, v10, v8, vcc
.LBB50_3:                               ;   in Loop: Header=BB50_4 Depth=1
	global_load_dwordx4 v[14:17], v[4:5], off offset:-8
	v_mul_lo_u32 v3, v7, s4
	v_mul_lo_u32 v10, v6, s5
	v_mad_u64_u32 v[6:7], s[0:1], v6, s4, 0
	v_add3_u32 v7, v7, v10, v3
	v_lshl_add_u64 v[6:7], v[6:7], 4, s[12:13]
	v_lshl_add_u64 v[6:7], v[8:9], 4, v[6:7]
	;; [unrolled: 1-line block ×3, first 2 shown]
	v_cmp_le_i64_e32 vcc, s[10:11], v[0:1]
	s_or_b64 s[20:21], vcc, s[20:21]
	v_lshl_add_u64 v[4:5], v[4:5], 0, s[14:15]
	s_waitcnt vmcnt(0)
	global_atomic_add_f64 v[6:7], v[14:15], off
	global_atomic_add_f64 v[6:7], v[16:17], off offset:8
	s_andn2_b64 exec, exec, s[20:21]
	s_cbranch_execz .LBB50_13
.LBB50_4:                               ; =>This Inner Loop Header: Depth=1
	v_or_b32_e32 v3, s9, v1
	v_cmp_ne_u64_e32 vcc, 0, v[2:3]
                                        ; implicit-def: $vgpr6_vgpr7
	s_and_saveexec_b64 s[0:1], vcc
	s_xor_b64 s[2:3], exec, s[0:1]
	s_cbranch_execnz .LBB50_7
; %bb.5:                                ;   in Loop: Header=BB50_4 Depth=1
	s_andn2_saveexec_b64 s[0:1], s[2:3]
	s_cbranch_execnz .LBB50_8
.LBB50_6:                               ;   in Loop: Header=BB50_4 Depth=1
	s_or_b64 exec, exec, s[0:1]
	s_andn2_b64 vcc, exec, s[24:25]
	v_mov_b64_e32 v[8:9], 0
	s_cbranch_vccnz .LBB50_3
	s_branch .LBB50_9
.LBB50_7:                               ;   in Loop: Header=BB50_4 Depth=1
	s_add_u32 s0, s8, s22
	s_mov_b32 s23, s22
	s_addc_u32 s1, s9, s22
	s_xor_b64 s[26:27], s[0:1], s[22:23]
	v_cvt_f32_u32_e32 v3, s26
	v_cvt_f32_u32_e32 v6, s27
	s_sub_u32 s23, 0, s26
	s_subb_u32 s28, 0, s27
	v_mov_b32_e32 v11, v2
	v_fmac_f32_e32 v3, 0x4f800000, v6
	v_rcp_f32_e32 v3, v3
	s_nop 0
	v_mul_f32_e32 v3, 0x5f7ffffc, v3
	v_mul_f32_e32 v6, 0x2f800000, v3
	v_trunc_f32_e32 v6, v6
	v_fmac_f32_e32 v3, 0xcf800000, v6
	v_cvt_u32_f32_e32 v6, v6
	v_cvt_u32_f32_e32 v3, v3
	v_readfirstlane_b32 s29, v6
	v_readfirstlane_b32 s0, v3
	s_mul_i32 s1, s23, s29
	s_mul_hi_u32 s34, s23, s0
	s_mul_i32 s33, s28, s0
	s_add_i32 s1, s34, s1
	s_add_i32 s1, s1, s33
	s_mul_i32 s35, s23, s0
	s_mul_i32 s34, s0, s1
	s_mul_hi_u32 s36, s0, s35
	s_mul_hi_u32 s33, s0, s1
	s_add_u32 s34, s36, s34
	s_addc_u32 s33, 0, s33
	s_mul_hi_u32 s37, s29, s35
	s_mul_i32 s35, s29, s35
	s_add_u32 s34, s34, s35
	s_mul_hi_u32 s36, s29, s1
	s_addc_u32 s33, s33, s37
	s_addc_u32 s34, s36, 0
	s_mul_i32 s1, s29, s1
	s_add_u32 s1, s33, s1
	s_addc_u32 s33, 0, s34
	s_add_u32 s34, s0, s1
	s_cselect_b64 s[0:1], -1, 0
	s_cmp_lg_u64 s[0:1], 0
	s_addc_u32 s29, s29, s33
	s_mul_i32 s0, s23, s29
	s_mul_hi_u32 s1, s23, s34
	s_add_i32 s0, s1, s0
	s_mul_i32 s28, s28, s34
	s_add_i32 s0, s0, s28
	s_mul_i32 s23, s23, s34
	s_mul_hi_u32 s28, s29, s23
	s_mul_i32 s33, s29, s23
	s_mul_i32 s36, s34, s0
	s_mul_hi_u32 s23, s34, s23
	s_mul_hi_u32 s35, s34, s0
	s_add_u32 s23, s23, s36
	s_addc_u32 s35, 0, s35
	s_add_u32 s23, s23, s33
	s_mul_hi_u32 s1, s29, s0
	s_addc_u32 s23, s35, s28
	s_addc_u32 s1, s1, 0
	s_mul_i32 s0, s29, s0
	s_add_u32 s0, s23, s0
	s_addc_u32 s23, 0, s1
	s_add_u32 s28, s34, s0
	v_ashrrev_i32_e32 v6, 31, v1
	s_cselect_b64 s[0:1], -1, 0
	v_mov_b32_e32 v7, v6
	s_cmp_lg_u64 s[0:1], 0
	v_lshl_add_u64 v[8:9], v[0:1], 0, v[6:7]
	s_addc_u32 s23, s29, s23
	v_xor_b32_e32 v7, v8, v6
	v_xor_b32_e32 v3, v9, v6
	v_mad_u64_u32 v[8:9], s[0:1], v7, s23, 0
	v_mul_hi_u32 v10, v7, s28
	v_lshl_add_u64 v[8:9], v[10:11], 0, v[8:9]
	v_mad_u64_u32 v[14:15], s[0:1], v3, s28, 0
	v_add_co_u32_e32 v8, vcc, v8, v14
	v_mad_u64_u32 v[10:11], s[0:1], v3, s23, 0
	s_nop 0
	v_addc_co_u32_e32 v8, vcc, v9, v15, vcc
	v_mov_b32_e32 v9, v2
	s_nop 0
	v_addc_co_u32_e32 v11, vcc, 0, v11, vcc
	v_lshl_add_u64 v[8:9], v[8:9], 0, v[10:11]
	v_mul_lo_u32 v13, s27, v8
	v_mul_lo_u32 v14, s26, v9
	v_mad_u64_u32 v[10:11], s[0:1], s26, v8, 0
	v_add3_u32 v13, v11, v14, v13
	v_sub_u32_e32 v11, v3, v13
	v_mov_b32_e32 v14, s27
	v_sub_co_u32_e32 v7, vcc, v7, v10
	s_nop 1
	v_subb_co_u32_e64 v10, s[0:1], v11, v14, vcc
	v_subrev_co_u32_e64 v11, s[0:1], s26, v7
	v_subb_co_u32_e32 v3, vcc, v3, v13, vcc
	s_nop 0
	v_subbrev_co_u32_e64 v10, s[0:1], 0, v10, s[0:1]
	v_cmp_le_u32_e64 s[0:1], s27, v10
	v_cmp_le_u32_e32 vcc, s27, v3
	s_nop 0
	v_cndmask_b32_e64 v14, 0, -1, s[0:1]
	v_cmp_le_u32_e64 s[0:1], s26, v11
	v_cndmask_b32_e64 v13, 0, -1, vcc
	v_cmp_le_u32_e32 vcc, s26, v7
	v_cndmask_b32_e64 v11, 0, -1, s[0:1]
	v_cmp_eq_u32_e64 s[0:1], s27, v10
	v_cndmask_b32_e64 v7, 0, -1, vcc
	v_cmp_eq_u32_e32 vcc, s27, v3
	v_cndmask_b32_e64 v16, v14, v11, s[0:1]
	v_lshl_add_u64 v[10:11], v[8:9], 0, 2
	v_lshl_add_u64 v[14:15], v[8:9], 0, 1
	v_cmp_ne_u32_e64 s[0:1], 0, v16
	v_cndmask_b32_e32 v3, v13, v7, vcc
	v_cmp_ne_u32_e32 vcc, 0, v3
	v_cndmask_b32_e64 v7, v14, v10, s[0:1]
	v_cndmask_b32_e64 v11, v15, v11, s[0:1]
	v_cndmask_b32_e32 v7, v8, v7, vcc
	v_xor_b32_e32 v8, s22, v6
	v_cndmask_b32_e32 v3, v9, v11, vcc
	v_xor_b32_e32 v6, v7, v8
	v_xor_b32_e32 v3, v3, v8
	v_sub_co_u32_e32 v6, vcc, v6, v8
	s_nop 1
	v_subb_co_u32_e32 v7, vcc, v3, v8, vcc
	s_andn2_saveexec_b64 s[0:1], s[2:3]
	s_cbranch_execz .LBB50_6
.LBB50_8:                               ;   in Loop: Header=BB50_4 Depth=1
	s_sub_i32 s2, 0, s8
	v_mul_lo_u32 v3, s2, v12
	v_mul_hi_u32 v3, v12, v3
	v_add_u32_e32 v3, v12, v3
	v_mul_hi_u32 v3, v0, v3
	v_mul_lo_u32 v6, v3, s8
	v_sub_u32_e32 v6, v0, v6
	v_subrev_u32_e32 v7, s8, v6
	v_cmp_le_u32_e32 vcc, s8, v6
	s_nop 1
	v_cndmask_b32_e32 v6, v6, v7, vcc
	v_add_u32_e32 v7, 1, v3
	v_cndmask_b32_e32 v3, v3, v7, vcc
	v_add_u32_e32 v7, 1, v3
	v_cmp_le_u32_e32 vcc, s8, v6
	s_nop 1
	v_cndmask_b32_e32 v6, v3, v7, vcc
	v_mov_b32_e32 v7, v2
	s_or_b64 exec, exec, s[0:1]
	s_andn2_b64 vcc, exec, s[24:25]
	v_mov_b64_e32 v[8:9], 0
	s_cbranch_vccnz .LBB50_3
.LBB50_9:                               ;   in Loop: Header=BB50_4 Depth=1
	v_lshl_add_u64 v[8:9], s[6:7], 0, v[0:1]
	v_mul_lo_u32 v3, s30, v7
	v_mul_lo_u32 v10, s31, v6
	v_mad_u64_u32 v[8:9], s[0:1], s30, v6, v[8:9]
	v_add3_u32 v9, v10, v9, v3
	v_or_b32_e32 v3, s17, v9
	v_cmp_ne_u64_e32 vcc, 0, v[2:3]
                                        ; implicit-def: $vgpr10_vgpr11
	s_and_saveexec_b64 s[0:1], vcc
	s_xor_b64 s[26:27], exec, s[0:1]
	s_cbranch_execz .LBB50_11
; %bb.10:                               ;   in Loop: Header=BB50_4 Depth=1
	s_ashr_i32 s0, s17, 31
	s_add_u32 s2, s16, s0
	s_mov_b32 s1, s0
	s_addc_u32 s3, s17, s0
	s_xor_b64 s[28:29], s[2:3], s[0:1]
	v_cvt_f32_u32_e32 v3, s28
	v_cvt_f32_u32_e32 v10, s29
	s_sub_u32 s2, 0, s28
	s_subb_u32 s3, 0, s29
	v_ashrrev_i32_e32 v14, 31, v9
	v_fmac_f32_e32 v3, 0x4f800000, v10
	v_rcp_f32_e32 v3, v3
	v_mov_b32_e32 v15, v14
	v_lshl_add_u64 v[8:9], v[8:9], 0, v[14:15]
	v_xor_b32_e32 v13, v8, v14
	v_mul_f32_e32 v3, 0x5f7ffffc, v3
	v_mul_f32_e32 v10, 0x2f800000, v3
	v_trunc_f32_e32 v10, v10
	v_fmac_f32_e32 v3, 0xcf800000, v10
	v_cvt_u32_f32_e32 v10, v10
	v_cvt_u32_f32_e32 v3, v3
	v_mov_b32_e32 v11, v2
	v_readfirstlane_b32 s23, v10
	v_readfirstlane_b32 s0, v3
	s_mul_i32 s1, s2, s23
	s_mul_hi_u32 s34, s2, s0
	s_mul_i32 s33, s3, s0
	s_add_i32 s1, s34, s1
	s_add_i32 s1, s1, s33
	s_mul_i32 s35, s2, s0
	s_mul_i32 s34, s0, s1
	s_mul_hi_u32 s36, s0, s35
	s_mul_hi_u32 s33, s0, s1
	s_add_u32 s34, s36, s34
	s_addc_u32 s33, 0, s33
	s_mul_hi_u32 s37, s23, s35
	s_mul_i32 s35, s23, s35
	s_add_u32 s34, s34, s35
	s_mul_hi_u32 s36, s23, s1
	s_addc_u32 s33, s33, s37
	s_addc_u32 s34, s36, 0
	s_mul_i32 s1, s23, s1
	s_add_u32 s1, s33, s1
	s_addc_u32 s33, 0, s34
	s_add_u32 s34, s0, s1
	s_cselect_b64 s[0:1], -1, 0
	s_cmp_lg_u64 s[0:1], 0
	s_addc_u32 s23, s23, s33
	s_mul_i32 s0, s2, s23
	s_mul_hi_u32 s1, s2, s34
	s_add_i32 s0, s1, s0
	s_mul_i32 s3, s3, s34
	s_add_i32 s0, s0, s3
	s_mul_i32 s2, s2, s34
	s_mul_hi_u32 s3, s23, s2
	s_mul_i32 s33, s23, s2
	s_mul_i32 s36, s34, s0
	s_mul_hi_u32 s2, s34, s2
	s_mul_hi_u32 s35, s34, s0
	s_add_u32 s2, s2, s36
	s_addc_u32 s35, 0, s35
	s_add_u32 s2, s2, s33
	s_mul_hi_u32 s1, s23, s0
	s_addc_u32 s2, s35, s3
	s_addc_u32 s1, s1, 0
	s_mul_i32 s0, s23, s0
	s_add_u32 s0, s2, s0
	s_addc_u32 s2, 0, s1
	s_add_u32 s3, s34, s0
	s_cselect_b64 s[0:1], -1, 0
	s_cmp_lg_u64 s[0:1], 0
	s_addc_u32 s2, s23, s2
	v_xor_b32_e32 v3, v9, v14
	v_mad_u64_u32 v[8:9], s[0:1], v13, s2, 0
	v_mul_hi_u32 v10, v13, s3
	v_lshl_add_u64 v[8:9], v[10:11], 0, v[8:9]
	v_mad_u64_u32 v[16:17], s[0:1], v3, s3, 0
	v_add_co_u32_e32 v8, vcc, v8, v16
	v_mad_u64_u32 v[10:11], s[0:1], v3, s2, 0
	s_nop 0
	v_addc_co_u32_e32 v8, vcc, v9, v17, vcc
	v_mov_b32_e32 v9, v2
	s_nop 0
	v_addc_co_u32_e32 v11, vcc, 0, v11, vcc
	v_lshl_add_u64 v[8:9], v[8:9], 0, v[10:11]
	v_mul_lo_u32 v10, s29, v8
	v_mul_lo_u32 v11, s28, v9
	v_mad_u64_u32 v[8:9], s[0:1], s28, v8, 0
	v_add3_u32 v9, v9, v11, v10
	v_sub_u32_e32 v10, v3, v9
	v_mov_b32_e32 v11, s29
	v_sub_co_u32_e32 v8, vcc, v13, v8
	s_nop 1
	v_subb_co_u32_e64 v10, s[0:1], v10, v11, vcc
	v_subrev_co_u32_e64 v13, s[0:1], s28, v8
	v_subb_co_u32_e32 v3, vcc, v3, v9, vcc
	s_nop 0
	v_subbrev_co_u32_e64 v15, s[2:3], 0, v10, s[0:1]
	v_cmp_le_u32_e64 s[2:3], s29, v15
	v_subb_co_u32_e64 v10, s[0:1], v10, v11, s[0:1]
	s_nop 0
	v_cndmask_b32_e64 v16, 0, -1, s[2:3]
	v_cmp_le_u32_e64 s[2:3], s28, v13
	v_subrev_co_u32_e64 v11, s[0:1], s28, v13
	s_nop 0
	v_cndmask_b32_e64 v17, 0, -1, s[2:3]
	v_cmp_eq_u32_e64 s[2:3], s29, v15
	v_subbrev_co_u32_e64 v10, s[0:1], 0, v10, s[0:1]
	s_nop 0
	v_cndmask_b32_e64 v16, v16, v17, s[2:3]
	v_cmp_le_u32_e32 vcc, s29, v3
	v_cmp_ne_u32_e64 s[0:1], 0, v16
	s_nop 0
	v_cndmask_b32_e64 v9, 0, -1, vcc
	v_cmp_le_u32_e32 vcc, s28, v8
	v_cndmask_b32_e64 v10, v15, v10, s[0:1]
	s_nop 0
	v_cndmask_b32_e64 v15, 0, -1, vcc
	v_cmp_eq_u32_e32 vcc, s29, v3
	s_nop 1
	v_cndmask_b32_e32 v9, v9, v15, vcc
	v_cmp_ne_u32_e32 vcc, 0, v9
	v_cndmask_b32_e64 v9, v13, v11, s[0:1]
	s_nop 0
	v_cndmask_b32_e32 v8, v8, v9, vcc
	v_cndmask_b32_e32 v3, v3, v10, vcc
	v_xor_b32_e32 v8, v8, v14
	v_xor_b32_e32 v3, v3, v14
	v_sub_co_u32_e32 v10, vcc, v8, v14
                                        ; implicit-def: $vgpr8_vgpr9
	s_nop 1
	v_subb_co_u32_e32 v11, vcc, v3, v14, vcc
.LBB50_11:                              ;   in Loop: Header=BB50_4 Depth=1
	s_andn2_saveexec_b64 s[0:1], s[26:27]
	s_cbranch_execz .LBB50_2
; %bb.12:                               ;   in Loop: Header=BB50_4 Depth=1
	v_cvt_f32_u32_e32 v3, s16
	s_sub_i32 s2, 0, s16
	v_mov_b32_e32 v11, v2
	v_rcp_iflag_f32_e32 v3, v3
	s_nop 0
	v_mul_f32_e32 v3, 0x4f7ffffe, v3
	v_cvt_u32_f32_e32 v3, v3
	v_mul_lo_u32 v9, s2, v3
	v_mul_hi_u32 v9, v3, v9
	v_add_u32_e32 v3, v3, v9
	v_mul_hi_u32 v3, v8, v3
	v_mul_lo_u32 v3, v3, s16
	v_sub_u32_e32 v3, v8, v3
	v_subrev_u32_e32 v8, s16, v3
	v_cmp_le_u32_e32 vcc, s16, v3
	s_nop 1
	v_cndmask_b32_e32 v3, v3, v8, vcc
	v_subrev_u32_e32 v8, s16, v3
	v_cmp_le_u32_e32 vcc, s16, v3
	s_nop 1
	v_cndmask_b32_e32 v10, v3, v8, vcc
	s_branch .LBB50_2
.LBB50_13:
	s_endpgm
	.section	.rodata,"a",@progbits
	.p2align	6, 0x0
	.amdhsa_kernel _ZN2at6native12_GLOBAL__N_130reflection_pad1d_backward_flatIN3c107complexIdEEEEvPT_PKS6_llll
		.amdhsa_group_segment_fixed_size 0
		.amdhsa_private_segment_fixed_size 0
		.amdhsa_kernarg_size 304
		.amdhsa_user_sgpr_count 2
		.amdhsa_user_sgpr_dispatch_ptr 0
		.amdhsa_user_sgpr_queue_ptr 0
		.amdhsa_user_sgpr_kernarg_segment_ptr 1
		.amdhsa_user_sgpr_dispatch_id 0
		.amdhsa_user_sgpr_kernarg_preload_length 0
		.amdhsa_user_sgpr_kernarg_preload_offset 0
		.amdhsa_user_sgpr_private_segment_size 0
		.amdhsa_uses_dynamic_stack 0
		.amdhsa_enable_private_segment 0
		.amdhsa_system_sgpr_workgroup_id_x 1
		.amdhsa_system_sgpr_workgroup_id_y 0
		.amdhsa_system_sgpr_workgroup_id_z 0
		.amdhsa_system_sgpr_workgroup_info 0
		.amdhsa_system_vgpr_workitem_id 0
		.amdhsa_next_free_vgpr 18
		.amdhsa_next_free_sgpr 38
		.amdhsa_accum_offset 20
		.amdhsa_reserve_vcc 1
		.amdhsa_float_round_mode_32 0
		.amdhsa_float_round_mode_16_64 0
		.amdhsa_float_denorm_mode_32 3
		.amdhsa_float_denorm_mode_16_64 3
		.amdhsa_dx10_clamp 1
		.amdhsa_ieee_mode 1
		.amdhsa_fp16_overflow 0
		.amdhsa_tg_split 0
		.amdhsa_exception_fp_ieee_invalid_op 0
		.amdhsa_exception_fp_denorm_src 0
		.amdhsa_exception_fp_ieee_div_zero 0
		.amdhsa_exception_fp_ieee_overflow 0
		.amdhsa_exception_fp_ieee_underflow 0
		.amdhsa_exception_fp_ieee_inexact 0
		.amdhsa_exception_int_div_zero 0
	.end_amdhsa_kernel
	.section	.text._ZN2at6native12_GLOBAL__N_130reflection_pad1d_backward_flatIN3c107complexIdEEEEvPT_PKS6_llll,"axG",@progbits,_ZN2at6native12_GLOBAL__N_130reflection_pad1d_backward_flatIN3c107complexIdEEEEvPT_PKS6_llll,comdat
.Lfunc_end50:
	.size	_ZN2at6native12_GLOBAL__N_130reflection_pad1d_backward_flatIN3c107complexIdEEEEvPT_PKS6_llll, .Lfunc_end50-_ZN2at6native12_GLOBAL__N_130reflection_pad1d_backward_flatIN3c107complexIdEEEEvPT_PKS6_llll
                                        ; -- End function
	.set _ZN2at6native12_GLOBAL__N_130reflection_pad1d_backward_flatIN3c107complexIdEEEEvPT_PKS6_llll.num_vgpr, 18
	.set _ZN2at6native12_GLOBAL__N_130reflection_pad1d_backward_flatIN3c107complexIdEEEEvPT_PKS6_llll.num_agpr, 0
	.set _ZN2at6native12_GLOBAL__N_130reflection_pad1d_backward_flatIN3c107complexIdEEEEvPT_PKS6_llll.numbered_sgpr, 38
	.set _ZN2at6native12_GLOBAL__N_130reflection_pad1d_backward_flatIN3c107complexIdEEEEvPT_PKS6_llll.num_named_barrier, 0
	.set _ZN2at6native12_GLOBAL__N_130reflection_pad1d_backward_flatIN3c107complexIdEEEEvPT_PKS6_llll.private_seg_size, 0
	.set _ZN2at6native12_GLOBAL__N_130reflection_pad1d_backward_flatIN3c107complexIdEEEEvPT_PKS6_llll.uses_vcc, 1
	.set _ZN2at6native12_GLOBAL__N_130reflection_pad1d_backward_flatIN3c107complexIdEEEEvPT_PKS6_llll.uses_flat_scratch, 0
	.set _ZN2at6native12_GLOBAL__N_130reflection_pad1d_backward_flatIN3c107complexIdEEEEvPT_PKS6_llll.has_dyn_sized_stack, 0
	.set _ZN2at6native12_GLOBAL__N_130reflection_pad1d_backward_flatIN3c107complexIdEEEEvPT_PKS6_llll.has_recursion, 0
	.set _ZN2at6native12_GLOBAL__N_130reflection_pad1d_backward_flatIN3c107complexIdEEEEvPT_PKS6_llll.has_indirect_call, 0
	.section	.AMDGPU.csdata,"",@progbits
; Kernel info:
; codeLenInByte = 1988
; TotalNumSgprs: 44
; NumVgprs: 18
; NumAgprs: 0
; TotalNumVgprs: 18
; ScratchSize: 0
; MemoryBound: 0
; FloatMode: 240
; IeeeMode: 1
; LDSByteSize: 0 bytes/workgroup (compile time only)
; SGPRBlocks: 5
; VGPRBlocks: 2
; NumSGPRsForWavesPerEU: 44
; NumVGPRsForWavesPerEU: 18
; AccumOffset: 20
; Occupancy: 8
; WaveLimiterHint : 0
; COMPUTE_PGM_RSRC2:SCRATCH_EN: 0
; COMPUTE_PGM_RSRC2:USER_SGPR: 2
; COMPUTE_PGM_RSRC2:TRAP_HANDLER: 0
; COMPUTE_PGM_RSRC2:TGID_X_EN: 1
; COMPUTE_PGM_RSRC2:TGID_Y_EN: 0
; COMPUTE_PGM_RSRC2:TGID_Z_EN: 0
; COMPUTE_PGM_RSRC2:TIDIG_COMP_CNT: 0
; COMPUTE_PGM_RSRC3_GFX90A:ACCUM_OFFSET: 4
; COMPUTE_PGM_RSRC3_GFX90A:TG_SPLIT: 0
	.section	.text._ZN2at6native12_GLOBAL__N_136reflection_pad1d_backward_out_kernelIN3c107complexIfEEEEvPT_PKS6_lll,"axG",@progbits,_ZN2at6native12_GLOBAL__N_136reflection_pad1d_backward_out_kernelIN3c107complexIfEEEEvPT_PKS6_lll,comdat
	.globl	_ZN2at6native12_GLOBAL__N_136reflection_pad1d_backward_out_kernelIN3c107complexIfEEEEvPT_PKS6_lll ; -- Begin function _ZN2at6native12_GLOBAL__N_136reflection_pad1d_backward_out_kernelIN3c107complexIfEEEEvPT_PKS6_lll
	.p2align	8
	.type	_ZN2at6native12_GLOBAL__N_136reflection_pad1d_backward_out_kernelIN3c107complexIfEEEEvPT_PKS6_lll,@function
_ZN2at6native12_GLOBAL__N_136reflection_pad1d_backward_out_kernelIN3c107complexIfEEEEvPT_PKS6_lll: ; @_ZN2at6native12_GLOBAL__N_136reflection_pad1d_backward_out_kernelIN3c107complexIfEEEEvPT_PKS6_lll
; %bb.0:
	s_load_dword s5, s[0:1], 0x34
	s_load_dwordx2 s[16:17], s[0:1], 0x20
	s_load_dwordx8 s[8:15], s[0:1], 0x0
	s_add_u32 s6, s0, 40
	s_addc_u32 s7, s1, 0
	s_waitcnt lgkmcnt(0)
	s_and_b32 s0, s5, 0xffff
	v_mov_b32_e32 v1, 0
	v_mov_b32_e32 v2, s2
	s_add_u32 s2, s14, s12
	v_mad_u64_u32 v[0:1], s[0:1], s0, v2, v[0:1]
	s_addc_u32 s5, s15, s13
	s_add_u32 s0, s2, s16
	s_addc_u32 s1, s5, s17
	v_cmp_gt_i64_e32 vcc, s[0:1], v[0:1]
	s_and_saveexec_b64 s[16:17], vcc
	s_cbranch_execz .LBB51_2
; %bb.1:
	s_load_dword s16, s[6:7], 0x4
	s_sub_u32 s6, 0, s14
	s_subb_u32 s7, 0, s15
	v_cmp_gt_i64_e64 s[18:19], s[6:7], 0
	v_mov_b32_e32 v6, s15
	s_waitcnt lgkmcnt(0)
	s_mul_i32 s4, s16, s4
	s_add_i32 s4, s4, s3
	s_mul_i32 s3, s13, s4
	s_mul_hi_u32 s13, s12, s4
	s_mul_i32 s16, s1, s4
	s_add_i32 s1, s13, s3
	s_mul_hi_u32 s3, s0, s4
	s_add_i32 s17, s3, s16
	s_and_b64 s[18:19], s[18:19], exec
	s_mul_i32 s16, s0, s4
	s_cselect_b32 s0, s7, 0
	s_cselect_b32 s3, s6, 0
	v_cmp_gt_i64_e64 s[6:7], s[14:15], 0
	s_and_b64 s[6:7], s[6:7], exec
	s_cselect_b32 s7, s15, 0
	s_cselect_b32 s6, s14, 0
	s_add_u32 s13, s2, s14
	s_addc_u32 s18, s5, s15
	s_not_b64 s[6:7], s[6:7]
	s_add_u32 s6, s13, s6
	s_addc_u32 s7, s18, s7
	s_add_u32 s3, s6, s3
	s_addc_u32 s13, s7, s0
	s_lshl_b64 s[6:7], s[16:17], 3
	s_add_u32 s6, s10, s6
	s_addc_u32 s7, s11, s7
	v_lshl_add_u64 v[2:3], v[0:1], 3, s[6:7]
	global_load_dwordx2 v[2:3], v[2:3], off
	v_subrev_co_u32_e32 v7, vcc, s14, v0
	v_mov_b32_e32 v4, s8
	s_nop 0
	v_subb_co_u32_e32 v6, vcc, v1, v6, vcc
	v_ashrrev_i32_e32 v8, 31, v6
	v_xor_b32_e32 v9, v6, v8
	v_xor_b32_e32 v6, v7, v8
	v_sub_co_u32_e32 v6, vcc, v6, v8
	v_mov_b32_e32 v5, s9
	s_nop 0
	v_subb_co_u32_e32 v7, vcc, v9, v8, vcc
	v_mov_b32_e32 v9, s5
	v_subrev_co_u32_e32 v8, vcc, s2, v0
	s_mul_i32 s0, s12, s4
	s_nop 0
	v_subb_co_u32_e32 v9, vcc, v1, v9, vcc
	v_lshl_add_u64 v[8:9], v[8:9], 0, 1
	v_ashrrev_i32_e32 v10, 31, v9
	v_xor_b32_e32 v8, v8, v10
	v_xor_b32_e32 v9, v9, v10
	v_sub_co_u32_e32 v8, vcc, v8, v10
	s_nop 1
	v_subb_co_u32_e32 v9, vcc, v9, v10, vcc
	v_lshl_add_u64 v[0:1], v[0:1], 0, v[8:9]
	v_mov_b32_e32 v8, s13
	v_sub_co_u32_e32 v0, vcc, s3, v0
	s_nop 1
	v_subb_co_u32_e32 v1, vcc, v8, v1, vcc
	v_lshl_add_u64 v[0:1], v[0:1], 3, v[4:5]
	v_lshl_add_u64 v[0:1], v[6:7], 3, v[0:1]
	;; [unrolled: 1-line block ×3, first 2 shown]
	s_waitcnt vmcnt(0)
	global_atomic_add_f32 v[0:1], v2, off
	global_atomic_add_f32 v[0:1], v3, off offset:4
.LBB51_2:
	s_endpgm
	.section	.rodata,"a",@progbits
	.p2align	6, 0x0
	.amdhsa_kernel _ZN2at6native12_GLOBAL__N_136reflection_pad1d_backward_out_kernelIN3c107complexIfEEEEvPT_PKS6_lll
		.amdhsa_group_segment_fixed_size 0
		.amdhsa_private_segment_fixed_size 0
		.amdhsa_kernarg_size 296
		.amdhsa_user_sgpr_count 2
		.amdhsa_user_sgpr_dispatch_ptr 0
		.amdhsa_user_sgpr_queue_ptr 0
		.amdhsa_user_sgpr_kernarg_segment_ptr 1
		.amdhsa_user_sgpr_dispatch_id 0
		.amdhsa_user_sgpr_kernarg_preload_length 0
		.amdhsa_user_sgpr_kernarg_preload_offset 0
		.amdhsa_user_sgpr_private_segment_size 0
		.amdhsa_uses_dynamic_stack 0
		.amdhsa_enable_private_segment 0
		.amdhsa_system_sgpr_workgroup_id_x 1
		.amdhsa_system_sgpr_workgroup_id_y 1
		.amdhsa_system_sgpr_workgroup_id_z 1
		.amdhsa_system_sgpr_workgroup_info 0
		.amdhsa_system_vgpr_workitem_id 0
		.amdhsa_next_free_vgpr 11
		.amdhsa_next_free_sgpr 20
		.amdhsa_accum_offset 12
		.amdhsa_reserve_vcc 1
		.amdhsa_float_round_mode_32 0
		.amdhsa_float_round_mode_16_64 0
		.amdhsa_float_denorm_mode_32 3
		.amdhsa_float_denorm_mode_16_64 3
		.amdhsa_dx10_clamp 1
		.amdhsa_ieee_mode 1
		.amdhsa_fp16_overflow 0
		.amdhsa_tg_split 0
		.amdhsa_exception_fp_ieee_invalid_op 0
		.amdhsa_exception_fp_denorm_src 0
		.amdhsa_exception_fp_ieee_div_zero 0
		.amdhsa_exception_fp_ieee_overflow 0
		.amdhsa_exception_fp_ieee_underflow 0
		.amdhsa_exception_fp_ieee_inexact 0
		.amdhsa_exception_int_div_zero 0
	.end_amdhsa_kernel
	.section	.text._ZN2at6native12_GLOBAL__N_136reflection_pad1d_backward_out_kernelIN3c107complexIfEEEEvPT_PKS6_lll,"axG",@progbits,_ZN2at6native12_GLOBAL__N_136reflection_pad1d_backward_out_kernelIN3c107complexIfEEEEvPT_PKS6_lll,comdat
.Lfunc_end51:
	.size	_ZN2at6native12_GLOBAL__N_136reflection_pad1d_backward_out_kernelIN3c107complexIfEEEEvPT_PKS6_lll, .Lfunc_end51-_ZN2at6native12_GLOBAL__N_136reflection_pad1d_backward_out_kernelIN3c107complexIfEEEEvPT_PKS6_lll
                                        ; -- End function
	.set _ZN2at6native12_GLOBAL__N_136reflection_pad1d_backward_out_kernelIN3c107complexIfEEEEvPT_PKS6_lll.num_vgpr, 11
	.set _ZN2at6native12_GLOBAL__N_136reflection_pad1d_backward_out_kernelIN3c107complexIfEEEEvPT_PKS6_lll.num_agpr, 0
	.set _ZN2at6native12_GLOBAL__N_136reflection_pad1d_backward_out_kernelIN3c107complexIfEEEEvPT_PKS6_lll.numbered_sgpr, 20
	.set _ZN2at6native12_GLOBAL__N_136reflection_pad1d_backward_out_kernelIN3c107complexIfEEEEvPT_PKS6_lll.num_named_barrier, 0
	.set _ZN2at6native12_GLOBAL__N_136reflection_pad1d_backward_out_kernelIN3c107complexIfEEEEvPT_PKS6_lll.private_seg_size, 0
	.set _ZN2at6native12_GLOBAL__N_136reflection_pad1d_backward_out_kernelIN3c107complexIfEEEEvPT_PKS6_lll.uses_vcc, 1
	.set _ZN2at6native12_GLOBAL__N_136reflection_pad1d_backward_out_kernelIN3c107complexIfEEEEvPT_PKS6_lll.uses_flat_scratch, 0
	.set _ZN2at6native12_GLOBAL__N_136reflection_pad1d_backward_out_kernelIN3c107complexIfEEEEvPT_PKS6_lll.has_dyn_sized_stack, 0
	.set _ZN2at6native12_GLOBAL__N_136reflection_pad1d_backward_out_kernelIN3c107complexIfEEEEvPT_PKS6_lll.has_recursion, 0
	.set _ZN2at6native12_GLOBAL__N_136reflection_pad1d_backward_out_kernelIN3c107complexIfEEEEvPT_PKS6_lll.has_indirect_call, 0
	.section	.AMDGPU.csdata,"",@progbits
; Kernel info:
; codeLenInByte = 412
; TotalNumSgprs: 26
; NumVgprs: 11
; NumAgprs: 0
; TotalNumVgprs: 11
; ScratchSize: 0
; MemoryBound: 0
; FloatMode: 240
; IeeeMode: 1
; LDSByteSize: 0 bytes/workgroup (compile time only)
; SGPRBlocks: 3
; VGPRBlocks: 1
; NumSGPRsForWavesPerEU: 26
; NumVGPRsForWavesPerEU: 11
; AccumOffset: 12
; Occupancy: 8
; WaveLimiterHint : 0
; COMPUTE_PGM_RSRC2:SCRATCH_EN: 0
; COMPUTE_PGM_RSRC2:USER_SGPR: 2
; COMPUTE_PGM_RSRC2:TRAP_HANDLER: 0
; COMPUTE_PGM_RSRC2:TGID_X_EN: 1
; COMPUTE_PGM_RSRC2:TGID_Y_EN: 1
; COMPUTE_PGM_RSRC2:TGID_Z_EN: 1
; COMPUTE_PGM_RSRC2:TIDIG_COMP_CNT: 0
; COMPUTE_PGM_RSRC3_GFX90A:ACCUM_OFFSET: 2
; COMPUTE_PGM_RSRC3_GFX90A:TG_SPLIT: 0
	.section	.text._ZN2at6native12_GLOBAL__N_130reflection_pad1d_backward_flatIN3c107complexIfEEEEvPT_PKS6_llll,"axG",@progbits,_ZN2at6native12_GLOBAL__N_130reflection_pad1d_backward_flatIN3c107complexIfEEEEvPT_PKS6_llll,comdat
	.globl	_ZN2at6native12_GLOBAL__N_130reflection_pad1d_backward_flatIN3c107complexIfEEEEvPT_PKS6_llll ; -- Begin function _ZN2at6native12_GLOBAL__N_130reflection_pad1d_backward_flatIN3c107complexIfEEEEvPT_PKS6_llll
	.p2align	8
	.type	_ZN2at6native12_GLOBAL__N_130reflection_pad1d_backward_flatIN3c107complexIfEEEEvPT_PKS6_llll,@function
_ZN2at6native12_GLOBAL__N_130reflection_pad1d_backward_flatIN3c107complexIfEEEEvPT_PKS6_llll: ; @_ZN2at6native12_GLOBAL__N_130reflection_pad1d_backward_flatIN3c107complexIfEEEEvPT_PKS6_llll
; %bb.0:
	s_load_dword s3, s[0:1], 0x3c
	s_load_dwordx8 s[4:11], s[0:1], 0x10
	s_add_u32 s16, s0, 48
	v_mov_b32_e32 v2, 0
	s_addc_u32 s17, s1, 0
	s_waitcnt lgkmcnt(0)
	s_and_b32 s3, s3, 0xffff
	s_mul_i32 s12, s10, s9
	s_mul_hi_u32 s13, s10, s8
	v_mov_b32_e32 v1, v2
	s_add_i32 s12, s13, s12
	s_mul_i32 s11, s11, s8
	v_mov_b32_e32 v3, s2
	s_add_i32 s11, s12, s11
	s_mul_i32 s10, s10, s8
	v_mad_u64_u32 v[0:1], s[12:13], s3, v3, v[0:1]
	v_cmp_gt_i64_e32 vcc, s[10:11], v[0:1]
	s_and_saveexec_b64 s[12:13], vcc
	s_cbranch_execz .LBB52_13
; %bb.1:
	v_cvt_f32_u32_e32 v3, s8
	s_load_dword s2, s[16:17], 0x0
	s_load_dwordx4 s[12:15], s[0:1], 0x0
	s_lshl_b64 s[0:1], s[4:5], 1
	s_add_u32 s16, s0, -2
	v_rcp_iflag_f32_e32 v3, v3
	s_addc_u32 s17, s1, -1
	s_sub_u32 s30, 0, s8
	s_subb_u32 s31, 0, s9
	v_mul_f32_e32 v3, 0x4f7ffffe, v3
	v_cvt_u32_f32_e32 v12, v3
	s_waitcnt lgkmcnt(0)
	s_mul_hi_u32 s19, s3, s2
	s_mul_i32 s18, s3, s2
	s_sub_u32 s6, 0, s6
	v_lshl_add_u64 v[4:5], v[0:1], 3, s[14:15]
	s_mov_b64 s[20:21], 0
	s_subb_u32 s7, 0, s7
	v_lshl_add_u64 v[4:5], v[4:5], 0, 4
	s_lshl_b64 s[14:15], s[18:19], 3
	s_ashr_i32 s22, s9, 31
	v_cmp_gt_i64_e64 s[24:25], s[16:17], 0
	s_branch .LBB52_4
.LBB52_2:                               ;   in Loop: Header=BB52_4 Depth=1
	s_or_b64 exec, exec, s[0:1]
	v_ashrrev_i32_e32 v3, 31, v11
	v_and_b32_e32 v9, s17, v3
	v_and_b32_e32 v8, s16, v3
	v_lshl_add_u64 v[8:9], v[8:9], 0, v[10:11]
	v_mov_b32_e32 v3, s17
	v_sub_co_u32_e32 v10, vcc, s16, v8
	s_nop 1
	v_subb_co_u32_e32 v3, vcc, v3, v9, vcc
	v_cmp_gt_i64_e32 vcc, s[4:5], v[8:9]
	s_nop 1
	v_cndmask_b32_e32 v9, v3, v9, vcc
	v_cndmask_b32_e32 v8, v10, v8, vcc
.LBB52_3:                               ;   in Loop: Header=BB52_4 Depth=1
	global_load_dwordx2 v[10:11], v[4:5], off offset:-4
	v_mul_lo_u32 v3, v7, s4
	v_mul_lo_u32 v13, v6, s5
	v_mad_u64_u32 v[6:7], s[0:1], v6, s4, 0
	v_add3_u32 v7, v7, v13, v3
	v_lshl_add_u64 v[6:7], v[6:7], 3, s[12:13]
	v_lshl_add_u64 v[6:7], v[8:9], 3, v[6:7]
	;; [unrolled: 1-line block ×3, first 2 shown]
	v_cmp_le_i64_e32 vcc, s[10:11], v[0:1]
	s_or_b64 s[20:21], vcc, s[20:21]
	v_lshl_add_u64 v[4:5], v[4:5], 0, s[14:15]
	s_waitcnt vmcnt(0)
	global_atomic_add_f32 v[6:7], v10, off
	global_atomic_add_f32 v[6:7], v11, off offset:4
	s_andn2_b64 exec, exec, s[20:21]
	s_cbranch_execz .LBB52_13
.LBB52_4:                               ; =>This Inner Loop Header: Depth=1
	v_or_b32_e32 v3, s9, v1
	v_cmp_ne_u64_e32 vcc, 0, v[2:3]
                                        ; implicit-def: $vgpr6_vgpr7
	s_and_saveexec_b64 s[0:1], vcc
	s_xor_b64 s[2:3], exec, s[0:1]
	s_cbranch_execnz .LBB52_7
; %bb.5:                                ;   in Loop: Header=BB52_4 Depth=1
	s_andn2_saveexec_b64 s[0:1], s[2:3]
	s_cbranch_execnz .LBB52_8
.LBB52_6:                               ;   in Loop: Header=BB52_4 Depth=1
	s_or_b64 exec, exec, s[0:1]
	s_andn2_b64 vcc, exec, s[24:25]
	v_mov_b64_e32 v[8:9], 0
	s_cbranch_vccnz .LBB52_3
	s_branch .LBB52_9
.LBB52_7:                               ;   in Loop: Header=BB52_4 Depth=1
	s_add_u32 s0, s8, s22
	s_mov_b32 s23, s22
	s_addc_u32 s1, s9, s22
	s_xor_b64 s[26:27], s[0:1], s[22:23]
	v_cvt_f32_u32_e32 v3, s26
	v_cvt_f32_u32_e32 v6, s27
	s_sub_u32 s23, 0, s26
	s_subb_u32 s28, 0, s27
	v_mov_b32_e32 v11, v2
	v_fmac_f32_e32 v3, 0x4f800000, v6
	v_rcp_f32_e32 v3, v3
	s_nop 0
	v_mul_f32_e32 v3, 0x5f7ffffc, v3
	v_mul_f32_e32 v6, 0x2f800000, v3
	v_trunc_f32_e32 v6, v6
	v_fmac_f32_e32 v3, 0xcf800000, v6
	v_cvt_u32_f32_e32 v6, v6
	v_cvt_u32_f32_e32 v3, v3
	v_readfirstlane_b32 s29, v6
	v_readfirstlane_b32 s0, v3
	s_mul_i32 s1, s23, s29
	s_mul_hi_u32 s34, s23, s0
	s_mul_i32 s33, s28, s0
	s_add_i32 s1, s34, s1
	s_add_i32 s1, s1, s33
	s_mul_i32 s35, s23, s0
	s_mul_i32 s34, s0, s1
	s_mul_hi_u32 s36, s0, s35
	s_mul_hi_u32 s33, s0, s1
	s_add_u32 s34, s36, s34
	s_addc_u32 s33, 0, s33
	s_mul_hi_u32 s37, s29, s35
	s_mul_i32 s35, s29, s35
	s_add_u32 s34, s34, s35
	s_mul_hi_u32 s36, s29, s1
	s_addc_u32 s33, s33, s37
	s_addc_u32 s34, s36, 0
	s_mul_i32 s1, s29, s1
	s_add_u32 s1, s33, s1
	s_addc_u32 s33, 0, s34
	s_add_u32 s34, s0, s1
	s_cselect_b64 s[0:1], -1, 0
	s_cmp_lg_u64 s[0:1], 0
	s_addc_u32 s29, s29, s33
	s_mul_i32 s0, s23, s29
	s_mul_hi_u32 s1, s23, s34
	s_add_i32 s0, s1, s0
	s_mul_i32 s28, s28, s34
	s_add_i32 s0, s0, s28
	s_mul_i32 s23, s23, s34
	s_mul_hi_u32 s28, s29, s23
	s_mul_i32 s33, s29, s23
	s_mul_i32 s36, s34, s0
	s_mul_hi_u32 s23, s34, s23
	s_mul_hi_u32 s35, s34, s0
	s_add_u32 s23, s23, s36
	s_addc_u32 s35, 0, s35
	s_add_u32 s23, s23, s33
	s_mul_hi_u32 s1, s29, s0
	s_addc_u32 s23, s35, s28
	s_addc_u32 s1, s1, 0
	s_mul_i32 s0, s29, s0
	s_add_u32 s0, s23, s0
	s_addc_u32 s23, 0, s1
	s_add_u32 s28, s34, s0
	v_ashrrev_i32_e32 v6, 31, v1
	s_cselect_b64 s[0:1], -1, 0
	v_mov_b32_e32 v7, v6
	s_cmp_lg_u64 s[0:1], 0
	v_lshl_add_u64 v[8:9], v[0:1], 0, v[6:7]
	s_addc_u32 s23, s29, s23
	v_xor_b32_e32 v7, v8, v6
	v_xor_b32_e32 v3, v9, v6
	v_mad_u64_u32 v[8:9], s[0:1], v7, s23, 0
	v_mul_hi_u32 v10, v7, s28
	v_lshl_add_u64 v[8:9], v[10:11], 0, v[8:9]
	v_mad_u64_u32 v[14:15], s[0:1], v3, s28, 0
	v_add_co_u32_e32 v8, vcc, v8, v14
	v_mad_u64_u32 v[10:11], s[0:1], v3, s23, 0
	s_nop 0
	v_addc_co_u32_e32 v8, vcc, v9, v15, vcc
	v_mov_b32_e32 v9, v2
	s_nop 0
	v_addc_co_u32_e32 v11, vcc, 0, v11, vcc
	v_lshl_add_u64 v[8:9], v[8:9], 0, v[10:11]
	v_mul_lo_u32 v13, s27, v8
	v_mul_lo_u32 v14, s26, v9
	v_mad_u64_u32 v[10:11], s[0:1], s26, v8, 0
	v_add3_u32 v13, v11, v14, v13
	v_sub_u32_e32 v11, v3, v13
	v_mov_b32_e32 v14, s27
	v_sub_co_u32_e32 v7, vcc, v7, v10
	s_nop 1
	v_subb_co_u32_e64 v10, s[0:1], v11, v14, vcc
	v_subrev_co_u32_e64 v11, s[0:1], s26, v7
	v_subb_co_u32_e32 v3, vcc, v3, v13, vcc
	s_nop 0
	v_subbrev_co_u32_e64 v10, s[0:1], 0, v10, s[0:1]
	v_cmp_le_u32_e64 s[0:1], s27, v10
	v_cmp_le_u32_e32 vcc, s27, v3
	s_nop 0
	v_cndmask_b32_e64 v14, 0, -1, s[0:1]
	v_cmp_le_u32_e64 s[0:1], s26, v11
	v_cndmask_b32_e64 v13, 0, -1, vcc
	v_cmp_le_u32_e32 vcc, s26, v7
	v_cndmask_b32_e64 v11, 0, -1, s[0:1]
	v_cmp_eq_u32_e64 s[0:1], s27, v10
	v_cndmask_b32_e64 v7, 0, -1, vcc
	v_cmp_eq_u32_e32 vcc, s27, v3
	v_cndmask_b32_e64 v16, v14, v11, s[0:1]
	v_lshl_add_u64 v[10:11], v[8:9], 0, 2
	v_lshl_add_u64 v[14:15], v[8:9], 0, 1
	v_cmp_ne_u32_e64 s[0:1], 0, v16
	v_cndmask_b32_e32 v3, v13, v7, vcc
	v_cmp_ne_u32_e32 vcc, 0, v3
	v_cndmask_b32_e64 v7, v14, v10, s[0:1]
	v_cndmask_b32_e64 v11, v15, v11, s[0:1]
	v_cndmask_b32_e32 v7, v8, v7, vcc
	v_xor_b32_e32 v8, s22, v6
	v_cndmask_b32_e32 v3, v9, v11, vcc
	v_xor_b32_e32 v6, v7, v8
	v_xor_b32_e32 v3, v3, v8
	v_sub_co_u32_e32 v6, vcc, v6, v8
	s_nop 1
	v_subb_co_u32_e32 v7, vcc, v3, v8, vcc
	s_andn2_saveexec_b64 s[0:1], s[2:3]
	s_cbranch_execz .LBB52_6
.LBB52_8:                               ;   in Loop: Header=BB52_4 Depth=1
	s_sub_i32 s2, 0, s8
	v_mul_lo_u32 v3, s2, v12
	v_mul_hi_u32 v3, v12, v3
	v_add_u32_e32 v3, v12, v3
	v_mul_hi_u32 v3, v0, v3
	v_mul_lo_u32 v6, v3, s8
	v_sub_u32_e32 v6, v0, v6
	v_subrev_u32_e32 v7, s8, v6
	v_cmp_le_u32_e32 vcc, s8, v6
	s_nop 1
	v_cndmask_b32_e32 v6, v6, v7, vcc
	v_add_u32_e32 v7, 1, v3
	v_cndmask_b32_e32 v3, v3, v7, vcc
	v_add_u32_e32 v7, 1, v3
	v_cmp_le_u32_e32 vcc, s8, v6
	s_nop 1
	v_cndmask_b32_e32 v6, v3, v7, vcc
	v_mov_b32_e32 v7, v2
	s_or_b64 exec, exec, s[0:1]
	s_andn2_b64 vcc, exec, s[24:25]
	v_mov_b64_e32 v[8:9], 0
	s_cbranch_vccnz .LBB52_3
.LBB52_9:                               ;   in Loop: Header=BB52_4 Depth=1
	v_lshl_add_u64 v[8:9], s[6:7], 0, v[0:1]
	v_mul_lo_u32 v3, s30, v7
	v_mul_lo_u32 v10, s31, v6
	v_mad_u64_u32 v[8:9], s[0:1], s30, v6, v[8:9]
	v_add3_u32 v9, v10, v9, v3
	v_or_b32_e32 v3, s17, v9
	v_cmp_ne_u64_e32 vcc, 0, v[2:3]
                                        ; implicit-def: $vgpr10_vgpr11
	s_and_saveexec_b64 s[0:1], vcc
	s_xor_b64 s[26:27], exec, s[0:1]
	s_cbranch_execz .LBB52_11
; %bb.10:                               ;   in Loop: Header=BB52_4 Depth=1
	s_ashr_i32 s0, s17, 31
	s_add_u32 s2, s16, s0
	s_mov_b32 s1, s0
	s_addc_u32 s3, s17, s0
	s_xor_b64 s[28:29], s[2:3], s[0:1]
	v_cvt_f32_u32_e32 v3, s28
	v_cvt_f32_u32_e32 v10, s29
	s_sub_u32 s2, 0, s28
	s_subb_u32 s3, 0, s29
	v_ashrrev_i32_e32 v14, 31, v9
	v_fmac_f32_e32 v3, 0x4f800000, v10
	v_rcp_f32_e32 v3, v3
	v_mov_b32_e32 v15, v14
	v_lshl_add_u64 v[8:9], v[8:9], 0, v[14:15]
	v_xor_b32_e32 v13, v8, v14
	v_mul_f32_e32 v3, 0x5f7ffffc, v3
	v_mul_f32_e32 v10, 0x2f800000, v3
	v_trunc_f32_e32 v10, v10
	v_fmac_f32_e32 v3, 0xcf800000, v10
	v_cvt_u32_f32_e32 v10, v10
	v_cvt_u32_f32_e32 v3, v3
	v_mov_b32_e32 v11, v2
	v_readfirstlane_b32 s23, v10
	v_readfirstlane_b32 s0, v3
	s_mul_i32 s1, s2, s23
	s_mul_hi_u32 s34, s2, s0
	s_mul_i32 s33, s3, s0
	s_add_i32 s1, s34, s1
	s_add_i32 s1, s1, s33
	s_mul_i32 s35, s2, s0
	s_mul_i32 s34, s0, s1
	s_mul_hi_u32 s36, s0, s35
	s_mul_hi_u32 s33, s0, s1
	s_add_u32 s34, s36, s34
	s_addc_u32 s33, 0, s33
	s_mul_hi_u32 s37, s23, s35
	s_mul_i32 s35, s23, s35
	s_add_u32 s34, s34, s35
	s_mul_hi_u32 s36, s23, s1
	s_addc_u32 s33, s33, s37
	s_addc_u32 s34, s36, 0
	s_mul_i32 s1, s23, s1
	s_add_u32 s1, s33, s1
	s_addc_u32 s33, 0, s34
	s_add_u32 s34, s0, s1
	s_cselect_b64 s[0:1], -1, 0
	s_cmp_lg_u64 s[0:1], 0
	s_addc_u32 s23, s23, s33
	s_mul_i32 s0, s2, s23
	s_mul_hi_u32 s1, s2, s34
	s_add_i32 s0, s1, s0
	s_mul_i32 s3, s3, s34
	s_add_i32 s0, s0, s3
	s_mul_i32 s2, s2, s34
	s_mul_hi_u32 s3, s23, s2
	s_mul_i32 s33, s23, s2
	s_mul_i32 s36, s34, s0
	s_mul_hi_u32 s2, s34, s2
	s_mul_hi_u32 s35, s34, s0
	s_add_u32 s2, s2, s36
	s_addc_u32 s35, 0, s35
	s_add_u32 s2, s2, s33
	s_mul_hi_u32 s1, s23, s0
	s_addc_u32 s2, s35, s3
	s_addc_u32 s1, s1, 0
	s_mul_i32 s0, s23, s0
	s_add_u32 s0, s2, s0
	s_addc_u32 s2, 0, s1
	s_add_u32 s3, s34, s0
	s_cselect_b64 s[0:1], -1, 0
	s_cmp_lg_u64 s[0:1], 0
	s_addc_u32 s2, s23, s2
	v_xor_b32_e32 v3, v9, v14
	v_mad_u64_u32 v[8:9], s[0:1], v13, s2, 0
	v_mul_hi_u32 v10, v13, s3
	v_lshl_add_u64 v[8:9], v[10:11], 0, v[8:9]
	v_mad_u64_u32 v[16:17], s[0:1], v3, s3, 0
	v_add_co_u32_e32 v8, vcc, v8, v16
	v_mad_u64_u32 v[10:11], s[0:1], v3, s2, 0
	s_nop 0
	v_addc_co_u32_e32 v8, vcc, v9, v17, vcc
	v_mov_b32_e32 v9, v2
	s_nop 0
	v_addc_co_u32_e32 v11, vcc, 0, v11, vcc
	v_lshl_add_u64 v[8:9], v[8:9], 0, v[10:11]
	v_mul_lo_u32 v10, s29, v8
	v_mul_lo_u32 v11, s28, v9
	v_mad_u64_u32 v[8:9], s[0:1], s28, v8, 0
	v_add3_u32 v9, v9, v11, v10
	v_sub_u32_e32 v10, v3, v9
	v_mov_b32_e32 v11, s29
	v_sub_co_u32_e32 v8, vcc, v13, v8
	s_nop 1
	v_subb_co_u32_e64 v10, s[0:1], v10, v11, vcc
	v_subrev_co_u32_e64 v13, s[0:1], s28, v8
	v_subb_co_u32_e32 v3, vcc, v3, v9, vcc
	s_nop 0
	v_subbrev_co_u32_e64 v15, s[2:3], 0, v10, s[0:1]
	v_cmp_le_u32_e64 s[2:3], s29, v15
	v_subb_co_u32_e64 v10, s[0:1], v10, v11, s[0:1]
	s_nop 0
	v_cndmask_b32_e64 v16, 0, -1, s[2:3]
	v_cmp_le_u32_e64 s[2:3], s28, v13
	v_subrev_co_u32_e64 v11, s[0:1], s28, v13
	s_nop 0
	v_cndmask_b32_e64 v17, 0, -1, s[2:3]
	v_cmp_eq_u32_e64 s[2:3], s29, v15
	v_subbrev_co_u32_e64 v10, s[0:1], 0, v10, s[0:1]
	s_nop 0
	v_cndmask_b32_e64 v16, v16, v17, s[2:3]
	v_cmp_le_u32_e32 vcc, s29, v3
	v_cmp_ne_u32_e64 s[0:1], 0, v16
	s_nop 0
	v_cndmask_b32_e64 v9, 0, -1, vcc
	v_cmp_le_u32_e32 vcc, s28, v8
	v_cndmask_b32_e64 v10, v15, v10, s[0:1]
	s_nop 0
	v_cndmask_b32_e64 v15, 0, -1, vcc
	v_cmp_eq_u32_e32 vcc, s29, v3
	s_nop 1
	v_cndmask_b32_e32 v9, v9, v15, vcc
	v_cmp_ne_u32_e32 vcc, 0, v9
	v_cndmask_b32_e64 v9, v13, v11, s[0:1]
	s_nop 0
	v_cndmask_b32_e32 v8, v8, v9, vcc
	v_cndmask_b32_e32 v3, v3, v10, vcc
	v_xor_b32_e32 v8, v8, v14
	v_xor_b32_e32 v3, v3, v14
	v_sub_co_u32_e32 v10, vcc, v8, v14
                                        ; implicit-def: $vgpr8_vgpr9
	s_nop 1
	v_subb_co_u32_e32 v11, vcc, v3, v14, vcc
.LBB52_11:                              ;   in Loop: Header=BB52_4 Depth=1
	s_andn2_saveexec_b64 s[0:1], s[26:27]
	s_cbranch_execz .LBB52_2
; %bb.12:                               ;   in Loop: Header=BB52_4 Depth=1
	v_cvt_f32_u32_e32 v3, s16
	s_sub_i32 s2, 0, s16
	v_mov_b32_e32 v11, v2
	v_rcp_iflag_f32_e32 v3, v3
	s_nop 0
	v_mul_f32_e32 v3, 0x4f7ffffe, v3
	v_cvt_u32_f32_e32 v3, v3
	v_mul_lo_u32 v9, s2, v3
	v_mul_hi_u32 v9, v3, v9
	v_add_u32_e32 v3, v3, v9
	v_mul_hi_u32 v3, v8, v3
	v_mul_lo_u32 v3, v3, s16
	v_sub_u32_e32 v3, v8, v3
	v_subrev_u32_e32 v8, s16, v3
	v_cmp_le_u32_e32 vcc, s16, v3
	s_nop 1
	v_cndmask_b32_e32 v3, v3, v8, vcc
	v_subrev_u32_e32 v8, s16, v3
	v_cmp_le_u32_e32 vcc, s16, v3
	s_nop 1
	v_cndmask_b32_e32 v10, v3, v8, vcc
	s_branch .LBB52_2
.LBB52_13:
	s_endpgm
	.section	.rodata,"a",@progbits
	.p2align	6, 0x0
	.amdhsa_kernel _ZN2at6native12_GLOBAL__N_130reflection_pad1d_backward_flatIN3c107complexIfEEEEvPT_PKS6_llll
		.amdhsa_group_segment_fixed_size 0
		.amdhsa_private_segment_fixed_size 0
		.amdhsa_kernarg_size 304
		.amdhsa_user_sgpr_count 2
		.amdhsa_user_sgpr_dispatch_ptr 0
		.amdhsa_user_sgpr_queue_ptr 0
		.amdhsa_user_sgpr_kernarg_segment_ptr 1
		.amdhsa_user_sgpr_dispatch_id 0
		.amdhsa_user_sgpr_kernarg_preload_length 0
		.amdhsa_user_sgpr_kernarg_preload_offset 0
		.amdhsa_user_sgpr_private_segment_size 0
		.amdhsa_uses_dynamic_stack 0
		.amdhsa_enable_private_segment 0
		.amdhsa_system_sgpr_workgroup_id_x 1
		.amdhsa_system_sgpr_workgroup_id_y 0
		.amdhsa_system_sgpr_workgroup_id_z 0
		.amdhsa_system_sgpr_workgroup_info 0
		.amdhsa_system_vgpr_workitem_id 0
		.amdhsa_next_free_vgpr 18
		.amdhsa_next_free_sgpr 38
		.amdhsa_accum_offset 20
		.amdhsa_reserve_vcc 1
		.amdhsa_float_round_mode_32 0
		.amdhsa_float_round_mode_16_64 0
		.amdhsa_float_denorm_mode_32 3
		.amdhsa_float_denorm_mode_16_64 3
		.amdhsa_dx10_clamp 1
		.amdhsa_ieee_mode 1
		.amdhsa_fp16_overflow 0
		.amdhsa_tg_split 0
		.amdhsa_exception_fp_ieee_invalid_op 0
		.amdhsa_exception_fp_denorm_src 0
		.amdhsa_exception_fp_ieee_div_zero 0
		.amdhsa_exception_fp_ieee_overflow 0
		.amdhsa_exception_fp_ieee_underflow 0
		.amdhsa_exception_fp_ieee_inexact 0
		.amdhsa_exception_int_div_zero 0
	.end_amdhsa_kernel
	.section	.text._ZN2at6native12_GLOBAL__N_130reflection_pad1d_backward_flatIN3c107complexIfEEEEvPT_PKS6_llll,"axG",@progbits,_ZN2at6native12_GLOBAL__N_130reflection_pad1d_backward_flatIN3c107complexIfEEEEvPT_PKS6_llll,comdat
.Lfunc_end52:
	.size	_ZN2at6native12_GLOBAL__N_130reflection_pad1d_backward_flatIN3c107complexIfEEEEvPT_PKS6_llll, .Lfunc_end52-_ZN2at6native12_GLOBAL__N_130reflection_pad1d_backward_flatIN3c107complexIfEEEEvPT_PKS6_llll
                                        ; -- End function
	.set _ZN2at6native12_GLOBAL__N_130reflection_pad1d_backward_flatIN3c107complexIfEEEEvPT_PKS6_llll.num_vgpr, 18
	.set _ZN2at6native12_GLOBAL__N_130reflection_pad1d_backward_flatIN3c107complexIfEEEEvPT_PKS6_llll.num_agpr, 0
	.set _ZN2at6native12_GLOBAL__N_130reflection_pad1d_backward_flatIN3c107complexIfEEEEvPT_PKS6_llll.numbered_sgpr, 38
	.set _ZN2at6native12_GLOBAL__N_130reflection_pad1d_backward_flatIN3c107complexIfEEEEvPT_PKS6_llll.num_named_barrier, 0
	.set _ZN2at6native12_GLOBAL__N_130reflection_pad1d_backward_flatIN3c107complexIfEEEEvPT_PKS6_llll.private_seg_size, 0
	.set _ZN2at6native12_GLOBAL__N_130reflection_pad1d_backward_flatIN3c107complexIfEEEEvPT_PKS6_llll.uses_vcc, 1
	.set _ZN2at6native12_GLOBAL__N_130reflection_pad1d_backward_flatIN3c107complexIfEEEEvPT_PKS6_llll.uses_flat_scratch, 0
	.set _ZN2at6native12_GLOBAL__N_130reflection_pad1d_backward_flatIN3c107complexIfEEEEvPT_PKS6_llll.has_dyn_sized_stack, 0
	.set _ZN2at6native12_GLOBAL__N_130reflection_pad1d_backward_flatIN3c107complexIfEEEEvPT_PKS6_llll.has_recursion, 0
	.set _ZN2at6native12_GLOBAL__N_130reflection_pad1d_backward_flatIN3c107complexIfEEEEvPT_PKS6_llll.has_indirect_call, 0
	.section	.AMDGPU.csdata,"",@progbits
; Kernel info:
; codeLenInByte = 1988
; TotalNumSgprs: 44
; NumVgprs: 18
; NumAgprs: 0
; TotalNumVgprs: 18
; ScratchSize: 0
; MemoryBound: 0
; FloatMode: 240
; IeeeMode: 1
; LDSByteSize: 0 bytes/workgroup (compile time only)
; SGPRBlocks: 5
; VGPRBlocks: 2
; NumSGPRsForWavesPerEU: 44
; NumVGPRsForWavesPerEU: 18
; AccumOffset: 20
; Occupancy: 8
; WaveLimiterHint : 0
; COMPUTE_PGM_RSRC2:SCRATCH_EN: 0
; COMPUTE_PGM_RSRC2:USER_SGPR: 2
; COMPUTE_PGM_RSRC2:TRAP_HANDLER: 0
; COMPUTE_PGM_RSRC2:TGID_X_EN: 1
; COMPUTE_PGM_RSRC2:TGID_Y_EN: 0
; COMPUTE_PGM_RSRC2:TGID_Z_EN: 0
; COMPUTE_PGM_RSRC2:TIDIG_COMP_CNT: 0
; COMPUTE_PGM_RSRC3_GFX90A:ACCUM_OFFSET: 4
; COMPUTE_PGM_RSRC3_GFX90A:TG_SPLIT: 0
	.section	.text._ZN2at6native12_GLOBAL__N_136reflection_pad1d_backward_out_kernelIN3c104HalfEEEvPT_PKS5_lll,"axG",@progbits,_ZN2at6native12_GLOBAL__N_136reflection_pad1d_backward_out_kernelIN3c104HalfEEEvPT_PKS5_lll,comdat
	.globl	_ZN2at6native12_GLOBAL__N_136reflection_pad1d_backward_out_kernelIN3c104HalfEEEvPT_PKS5_lll ; -- Begin function _ZN2at6native12_GLOBAL__N_136reflection_pad1d_backward_out_kernelIN3c104HalfEEEvPT_PKS5_lll
	.p2align	8
	.type	_ZN2at6native12_GLOBAL__N_136reflection_pad1d_backward_out_kernelIN3c104HalfEEEvPT_PKS5_lll,@function
_ZN2at6native12_GLOBAL__N_136reflection_pad1d_backward_out_kernelIN3c104HalfEEEvPT_PKS5_lll: ; @_ZN2at6native12_GLOBAL__N_136reflection_pad1d_backward_out_kernelIN3c104HalfEEEvPT_PKS5_lll
; %bb.0:
	s_load_dword s5, s[0:1], 0x34
	s_load_dwordx2 s[16:17], s[0:1], 0x20
	s_load_dwordx8 s[8:15], s[0:1], 0x0
	s_add_u32 s6, s0, 40
	s_addc_u32 s7, s1, 0
	s_waitcnt lgkmcnt(0)
	s_and_b32 s0, s5, 0xffff
	v_mov_b32_e32 v1, 0
	v_mov_b32_e32 v2, s2
	s_add_u32 s2, s14, s12
	v_mad_u64_u32 v[2:3], s[0:1], s0, v2, v[0:1]
	s_addc_u32 s5, s15, s13
	s_add_u32 s0, s2, s16
	s_addc_u32 s1, s5, s17
	v_cmp_gt_i64_e32 vcc, s[0:1], v[2:3]
	s_and_saveexec_b64 s[16:17], vcc
	s_cbranch_execz .LBB53_7
; %bb.1:
	s_load_dword s16, s[6:7], 0x4
	s_sub_u32 s6, 0, s14
	v_mov_b32_e32 v0, s15
	v_subrev_co_u32_e32 v6, vcc, s14, v2
	s_waitcnt lgkmcnt(0)
	s_mul_i32 s4, s16, s4
	s_subb_u32 s7, 0, s15
	s_add_i32 s4, s4, s3
	v_subb_co_u32_e32 v0, vcc, v3, v0, vcc
	v_mov_b32_e32 v4, s8
	s_mul_i32 s3, s13, s4
	s_mul_hi_u32 s8, s12, s4
	v_ashrrev_i32_e32 v7, 31, v0
	v_mov_b32_e32 v5, s9
	s_add_i32 s9, s8, s3
	s_mul_i32 s1, s1, s4
	s_mul_hi_u32 s3, s0, s4
	v_xor_b32_e32 v6, v6, v7
	s_mul_i32 s8, s12, s4
	s_add_i32 s1, s3, s1
	v_cmp_gt_i64_e64 s[12:13], s[6:7], 0
	v_xor_b32_e32 v0, v0, v7
	v_sub_co_u32_e32 v6, vcc, v6, v7
	s_and_b64 s[12:13], s[12:13], exec
	s_nop 0
	v_subb_co_u32_e32 v7, vcc, v0, v7, vcc
	s_mul_i32 s0, s0, s4
	s_cselect_b32 s4, s7, 0
	s_cselect_b32 s12, s6, 0
	v_cmp_gt_i64_e64 s[6:7], s[14:15], 0
	v_mov_b32_e32 v0, s5
	v_subrev_co_u32_e32 v8, vcc, s2, v2
	s_and_b64 s[6:7], s[6:7], exec
	s_nop 0
	v_subb_co_u32_e32 v9, vcc, v3, v0, vcc
	s_cselect_b32 s7, s15, 0
	s_cselect_b32 s6, s14, 0
	v_lshl_add_u64 v[8:9], v[8:9], 0, 1
	s_add_u32 s13, s2, s14
	v_ashrrev_i32_e32 v0, 31, v9
	s_addc_u32 s5, s5, s15
	s_not_b64 s[2:3], s[6:7]
	v_xor_b32_e32 v8, v8, v0
	s_add_u32 s2, s13, s2
	v_xor_b32_e32 v9, v9, v0
	v_sub_co_u32_e32 v8, vcc, v8, v0
	s_addc_u32 s3, s5, s3
	s_nop 0
	v_subb_co_u32_e32 v9, vcc, v9, v0, vcc
	s_add_u32 s2, s2, s12
	v_lshl_add_u64 v[8:9], v[2:3], 0, v[8:9]
	s_addc_u32 s3, s3, s4
	v_mov_b32_e32 v0, s3
	v_sub_co_u32_e32 v8, vcc, s2, v8
	s_lshl_b64 s[0:1], s[0:1], 1
	s_nop 0
	v_subb_co_u32_e32 v9, vcc, v0, v9, vcc
	v_lshl_add_u64 v[4:5], v[8:9], 1, v[4:5]
	v_lshl_add_u64 v[4:5], v[6:7], 1, v[4:5]
	s_add_u32 s0, s10, s0
	v_lshl_add_u64 v[4:5], s[8:9], 1, v[4:5]
	s_addc_u32 s1, s11, s1
	v_lshl_add_u64 v[2:3], v[2:3], 1, s[0:1]
	v_and_b32_e32 v0, 2, v4
	global_load_ushort v6, v[2:3], off
	v_sub_co_u32_e32 v2, vcc, 0, v0
	s_mov_b64 s[4:5], 0
	s_nop 0
	v_subb_co_u32_e64 v3, s[0:1], 0, 0, vcc
	v_lshl_add_u64 v[2:3], v[4:5], 0, v[2:3]
	global_load_dword v5, v[2:3], off
	v_cmp_eq_u64_e32 vcc, 0, v[0:1]
	v_cmp_ne_u32_e64 s[0:1], 0, v0
	s_mov_b32 s6, 0xffff0000
	s_branch .LBB53_3
.LBB53_2:                               ;   in Loop: Header=BB53_3 Depth=1
	s_or_b64 exec, exec, s[2:3]
	global_atomic_cmpswap v0, v[2:3], v[4:5], off sc0
	s_waitcnt vmcnt(0)
	v_cmp_eq_u32_e64 s[2:3], v5, v0
	s_or_b64 s[4:5], s[2:3], s[4:5]
	v_mov_b32_e32 v5, v0
	s_andn2_b64 exec, exec, s[4:5]
	s_cbranch_execz .LBB53_7
.LBB53_3:                               ; =>This Inner Loop Header: Depth=1
	s_waitcnt vmcnt(0)
	v_cndmask_b32_sdwa v0, v5, v5, vcc dst_sel:DWORD dst_unused:UNUSED_PAD src0_sel:WORD_1 src1_sel:DWORD
	v_add_f16_e32 v0, v6, v0
	s_and_saveexec_b64 s[2:3], s[0:1]
	s_xor_b64 s[2:3], exec, s[2:3]
; %bb.4:                                ;   in Loop: Header=BB53_3 Depth=1
	v_and_b32_e32 v1, 0xffff, v5
	v_lshl_or_b32 v4, v0, 16, v1
                                        ; implicit-def: $vgpr0
; %bb.5:                                ;   in Loop: Header=BB53_3 Depth=1
	s_andn2_saveexec_b64 s[2:3], s[2:3]
	s_cbranch_execz .LBB53_2
; %bb.6:                                ;   in Loop: Header=BB53_3 Depth=1
	v_and_or_b32 v4, v5, s6, v0
	s_branch .LBB53_2
.LBB53_7:
	s_endpgm
	.section	.rodata,"a",@progbits
	.p2align	6, 0x0
	.amdhsa_kernel _ZN2at6native12_GLOBAL__N_136reflection_pad1d_backward_out_kernelIN3c104HalfEEEvPT_PKS5_lll
		.amdhsa_group_segment_fixed_size 0
		.amdhsa_private_segment_fixed_size 0
		.amdhsa_kernarg_size 296
		.amdhsa_user_sgpr_count 2
		.amdhsa_user_sgpr_dispatch_ptr 0
		.amdhsa_user_sgpr_queue_ptr 0
		.amdhsa_user_sgpr_kernarg_segment_ptr 1
		.amdhsa_user_sgpr_dispatch_id 0
		.amdhsa_user_sgpr_kernarg_preload_length 0
		.amdhsa_user_sgpr_kernarg_preload_offset 0
		.amdhsa_user_sgpr_private_segment_size 0
		.amdhsa_uses_dynamic_stack 0
		.amdhsa_enable_private_segment 0
		.amdhsa_system_sgpr_workgroup_id_x 1
		.amdhsa_system_sgpr_workgroup_id_y 1
		.amdhsa_system_sgpr_workgroup_id_z 1
		.amdhsa_system_sgpr_workgroup_info 0
		.amdhsa_system_vgpr_workitem_id 0
		.amdhsa_next_free_vgpr 10
		.amdhsa_next_free_sgpr 18
		.amdhsa_accum_offset 12
		.amdhsa_reserve_vcc 1
		.amdhsa_float_round_mode_32 0
		.amdhsa_float_round_mode_16_64 0
		.amdhsa_float_denorm_mode_32 3
		.amdhsa_float_denorm_mode_16_64 3
		.amdhsa_dx10_clamp 1
		.amdhsa_ieee_mode 1
		.amdhsa_fp16_overflow 0
		.amdhsa_tg_split 0
		.amdhsa_exception_fp_ieee_invalid_op 0
		.amdhsa_exception_fp_denorm_src 0
		.amdhsa_exception_fp_ieee_div_zero 0
		.amdhsa_exception_fp_ieee_overflow 0
		.amdhsa_exception_fp_ieee_underflow 0
		.amdhsa_exception_fp_ieee_inexact 0
		.amdhsa_exception_int_div_zero 0
	.end_amdhsa_kernel
	.section	.text._ZN2at6native12_GLOBAL__N_136reflection_pad1d_backward_out_kernelIN3c104HalfEEEvPT_PKS5_lll,"axG",@progbits,_ZN2at6native12_GLOBAL__N_136reflection_pad1d_backward_out_kernelIN3c104HalfEEEvPT_PKS5_lll,comdat
.Lfunc_end53:
	.size	_ZN2at6native12_GLOBAL__N_136reflection_pad1d_backward_out_kernelIN3c104HalfEEEvPT_PKS5_lll, .Lfunc_end53-_ZN2at6native12_GLOBAL__N_136reflection_pad1d_backward_out_kernelIN3c104HalfEEEvPT_PKS5_lll
                                        ; -- End function
	.set _ZN2at6native12_GLOBAL__N_136reflection_pad1d_backward_out_kernelIN3c104HalfEEEvPT_PKS5_lll.num_vgpr, 10
	.set _ZN2at6native12_GLOBAL__N_136reflection_pad1d_backward_out_kernelIN3c104HalfEEEvPT_PKS5_lll.num_agpr, 0
	.set _ZN2at6native12_GLOBAL__N_136reflection_pad1d_backward_out_kernelIN3c104HalfEEEvPT_PKS5_lll.numbered_sgpr, 18
	.set _ZN2at6native12_GLOBAL__N_136reflection_pad1d_backward_out_kernelIN3c104HalfEEEvPT_PKS5_lll.num_named_barrier, 0
	.set _ZN2at6native12_GLOBAL__N_136reflection_pad1d_backward_out_kernelIN3c104HalfEEEvPT_PKS5_lll.private_seg_size, 0
	.set _ZN2at6native12_GLOBAL__N_136reflection_pad1d_backward_out_kernelIN3c104HalfEEEvPT_PKS5_lll.uses_vcc, 1
	.set _ZN2at6native12_GLOBAL__N_136reflection_pad1d_backward_out_kernelIN3c104HalfEEEvPT_PKS5_lll.uses_flat_scratch, 0
	.set _ZN2at6native12_GLOBAL__N_136reflection_pad1d_backward_out_kernelIN3c104HalfEEEvPT_PKS5_lll.has_dyn_sized_stack, 0
	.set _ZN2at6native12_GLOBAL__N_136reflection_pad1d_backward_out_kernelIN3c104HalfEEEvPT_PKS5_lll.has_recursion, 0
	.set _ZN2at6native12_GLOBAL__N_136reflection_pad1d_backward_out_kernelIN3c104HalfEEEvPT_PKS5_lll.has_indirect_call, 0
	.section	.AMDGPU.csdata,"",@progbits
; Kernel info:
; codeLenInByte = 552
; TotalNumSgprs: 24
; NumVgprs: 10
; NumAgprs: 0
; TotalNumVgprs: 10
; ScratchSize: 0
; MemoryBound: 0
; FloatMode: 240
; IeeeMode: 1
; LDSByteSize: 0 bytes/workgroup (compile time only)
; SGPRBlocks: 2
; VGPRBlocks: 1
; NumSGPRsForWavesPerEU: 24
; NumVGPRsForWavesPerEU: 10
; AccumOffset: 12
; Occupancy: 8
; WaveLimiterHint : 0
; COMPUTE_PGM_RSRC2:SCRATCH_EN: 0
; COMPUTE_PGM_RSRC2:USER_SGPR: 2
; COMPUTE_PGM_RSRC2:TRAP_HANDLER: 0
; COMPUTE_PGM_RSRC2:TGID_X_EN: 1
; COMPUTE_PGM_RSRC2:TGID_Y_EN: 1
; COMPUTE_PGM_RSRC2:TGID_Z_EN: 1
; COMPUTE_PGM_RSRC2:TIDIG_COMP_CNT: 0
; COMPUTE_PGM_RSRC3_GFX90A:ACCUM_OFFSET: 2
; COMPUTE_PGM_RSRC3_GFX90A:TG_SPLIT: 0
	.section	.text._ZN2at6native12_GLOBAL__N_130reflection_pad1d_backward_flatIN3c104HalfEEEvPT_PKS5_llll,"axG",@progbits,_ZN2at6native12_GLOBAL__N_130reflection_pad1d_backward_flatIN3c104HalfEEEvPT_PKS5_llll,comdat
	.globl	_ZN2at6native12_GLOBAL__N_130reflection_pad1d_backward_flatIN3c104HalfEEEvPT_PKS5_llll ; -- Begin function _ZN2at6native12_GLOBAL__N_130reflection_pad1d_backward_flatIN3c104HalfEEEvPT_PKS5_llll
	.p2align	8
	.type	_ZN2at6native12_GLOBAL__N_130reflection_pad1d_backward_flatIN3c104HalfEEEvPT_PKS5_llll,@function
_ZN2at6native12_GLOBAL__N_130reflection_pad1d_backward_flatIN3c104HalfEEEvPT_PKS5_llll: ; @_ZN2at6native12_GLOBAL__N_130reflection_pad1d_backward_flatIN3c104HalfEEEvPT_PKS5_llll
; %bb.0:
	s_load_dword s3, s[0:1], 0x3c
	s_load_dwordx8 s[4:11], s[0:1], 0x10
	s_add_u32 s16, s0, 48
	v_mov_b32_e32 v2, 0
	s_addc_u32 s17, s1, 0
	s_waitcnt lgkmcnt(0)
	s_and_b32 s3, s3, 0xffff
	s_mul_i32 s12, s10, s9
	s_mul_hi_u32 s13, s10, s8
	v_mov_b32_e32 v1, v2
	s_add_i32 s12, s13, s12
	s_mul_i32 s11, s11, s8
	v_mov_b32_e32 v3, s2
	s_add_i32 s11, s12, s11
	s_mul_i32 s10, s10, s8
	v_mad_u64_u32 v[0:1], s[12:13], s3, v3, v[0:1]
	v_cmp_gt_i64_e32 vcc, s[10:11], v[0:1]
	s_and_saveexec_b64 s[12:13], vcc
	s_cbranch_execz .LBB54_19
; %bb.1:
	v_cvt_f32_u32_e32 v3, s8
	s_load_dword s2, s[16:17], 0x0
	s_load_dwordx4 s[12:15], s[0:1], 0x0
	s_lshl_b64 s[0:1], s[4:5], 1
	s_add_u32 s18, s0, -2
	v_rcp_iflag_f32_e32 v3, v3
	s_addc_u32 s19, s1, -1
	s_waitcnt lgkmcnt(0)
	s_mul_hi_u32 s17, s3, s2
	s_mul_i32 s16, s3, s2
	v_mul_f32_e32 v3, 0x4f7ffffe, v3
	v_cvt_u32_f32_e32 v10, v3
	s_mov_b64 s[20:21], 0
	s_ashr_i32 s22, s9, 31
	s_mov_b32 s30, 0xffff0000
	v_cmp_gt_i64_e64 s[24:25], s[18:19], 0
	s_branch .LBB54_3
.LBB54_2:                               ;   in Loop: Header=BB54_3 Depth=1
	s_or_b64 exec, exec, s[26:27]
	v_lshl_add_u64 v[0:1], v[0:1], 0, s[16:17]
	v_cmp_le_i64_e32 vcc, s[10:11], v[0:1]
	s_or_b64 s[20:21], vcc, s[20:21]
	s_andn2_b64 exec, exec, s[20:21]
	s_cbranch_execz .LBB54_19
.LBB54_3:                               ; =>This Loop Header: Depth=1
                                        ;     Child Loop BB54_15 Depth 2
	v_or_b32_e32 v3, s9, v1
	v_cmp_ne_u64_e32 vcc, 0, v[2:3]
                                        ; implicit-def: $vgpr4_vgpr5
	s_and_saveexec_b64 s[0:1], vcc
	s_xor_b64 s[2:3], exec, s[0:1]
	s_cbranch_execnz .LBB54_6
; %bb.4:                                ;   in Loop: Header=BB54_3 Depth=1
	s_andn2_saveexec_b64 s[0:1], s[2:3]
	s_cbranch_execnz .LBB54_7
.LBB54_5:                               ;   in Loop: Header=BB54_3 Depth=1
	s_or_b64 exec, exec, s[0:1]
	s_andn2_b64 vcc, exec, s[24:25]
	v_mov_b64_e32 v[6:7], 0
	s_cbranch_vccz .LBB54_8
	s_branch .LBB54_13
.LBB54_6:                               ;   in Loop: Header=BB54_3 Depth=1
	s_add_u32 s0, s8, s22
	s_mov_b32 s23, s22
	s_addc_u32 s1, s9, s22
	s_xor_b64 s[26:27], s[0:1], s[22:23]
	v_cvt_f32_u32_e32 v3, s26
	v_cvt_f32_u32_e32 v4, s27
	s_sub_u32 s23, 0, s26
	s_subb_u32 s28, 0, s27
	v_mov_b32_e32 v9, v2
	v_fmac_f32_e32 v3, 0x4f800000, v4
	v_rcp_f32_e32 v3, v3
	s_nop 0
	v_mul_f32_e32 v3, 0x5f7ffffc, v3
	v_mul_f32_e32 v4, 0x2f800000, v3
	v_trunc_f32_e32 v4, v4
	v_fmac_f32_e32 v3, 0xcf800000, v4
	v_cvt_u32_f32_e32 v4, v4
	v_cvt_u32_f32_e32 v3, v3
	v_readfirstlane_b32 s29, v4
	v_readfirstlane_b32 s0, v3
	s_mul_i32 s1, s23, s29
	s_mul_hi_u32 s33, s23, s0
	s_mul_i32 s31, s28, s0
	s_add_i32 s1, s33, s1
	s_add_i32 s1, s1, s31
	s_mul_i32 s34, s23, s0
	s_mul_i32 s33, s0, s1
	s_mul_hi_u32 s35, s0, s34
	s_mul_hi_u32 s31, s0, s1
	s_add_u32 s33, s35, s33
	s_addc_u32 s31, 0, s31
	s_mul_hi_u32 s36, s29, s34
	s_mul_i32 s34, s29, s34
	s_add_u32 s33, s33, s34
	s_mul_hi_u32 s35, s29, s1
	s_addc_u32 s31, s31, s36
	s_addc_u32 s33, s35, 0
	s_mul_i32 s1, s29, s1
	s_add_u32 s1, s31, s1
	s_addc_u32 s31, 0, s33
	s_add_u32 s33, s0, s1
	s_cselect_b64 s[0:1], -1, 0
	s_cmp_lg_u64 s[0:1], 0
	s_addc_u32 s29, s29, s31
	s_mul_i32 s0, s23, s29
	s_mul_hi_u32 s1, s23, s33
	s_add_i32 s0, s1, s0
	s_mul_i32 s28, s28, s33
	s_add_i32 s0, s0, s28
	s_mul_i32 s23, s23, s33
	s_mul_hi_u32 s28, s29, s23
	s_mul_i32 s31, s29, s23
	s_mul_i32 s35, s33, s0
	s_mul_hi_u32 s23, s33, s23
	s_mul_hi_u32 s34, s33, s0
	s_add_u32 s23, s23, s35
	s_addc_u32 s34, 0, s34
	s_add_u32 s23, s23, s31
	s_mul_hi_u32 s1, s29, s0
	s_addc_u32 s23, s34, s28
	s_addc_u32 s1, s1, 0
	s_mul_i32 s0, s29, s0
	s_add_u32 s0, s23, s0
	s_addc_u32 s23, 0, s1
	s_add_u32 s28, s33, s0
	v_ashrrev_i32_e32 v4, 31, v1
	s_cselect_b64 s[0:1], -1, 0
	v_mov_b32_e32 v5, v4
	s_cmp_lg_u64 s[0:1], 0
	v_lshl_add_u64 v[6:7], v[0:1], 0, v[4:5]
	s_addc_u32 s23, s29, s23
	v_xor_b32_e32 v5, v6, v4
	v_xor_b32_e32 v3, v7, v4
	v_mad_u64_u32 v[6:7], s[0:1], v5, s23, 0
	v_mul_hi_u32 v8, v5, s28
	v_lshl_add_u64 v[6:7], v[8:9], 0, v[6:7]
	v_mad_u64_u32 v[12:13], s[0:1], v3, s28, 0
	v_add_co_u32_e32 v6, vcc, v6, v12
	v_mad_u64_u32 v[8:9], s[0:1], v3, s23, 0
	s_nop 0
	v_addc_co_u32_e32 v6, vcc, v7, v13, vcc
	v_mov_b32_e32 v7, v2
	s_nop 0
	v_addc_co_u32_e32 v9, vcc, 0, v9, vcc
	v_lshl_add_u64 v[6:7], v[6:7], 0, v[8:9]
	v_mul_lo_u32 v11, s27, v6
	v_mul_lo_u32 v12, s26, v7
	v_mad_u64_u32 v[8:9], s[0:1], s26, v6, 0
	v_add3_u32 v11, v9, v12, v11
	v_sub_u32_e32 v9, v3, v11
	v_mov_b32_e32 v12, s27
	v_sub_co_u32_e32 v5, vcc, v5, v8
	s_nop 1
	v_subb_co_u32_e64 v8, s[0:1], v9, v12, vcc
	v_subrev_co_u32_e64 v9, s[0:1], s26, v5
	v_subb_co_u32_e32 v3, vcc, v3, v11, vcc
	s_nop 0
	v_subbrev_co_u32_e64 v8, s[0:1], 0, v8, s[0:1]
	v_cmp_le_u32_e64 s[0:1], s27, v8
	v_cmp_le_u32_e32 vcc, s27, v3
	s_nop 0
	v_cndmask_b32_e64 v12, 0, -1, s[0:1]
	v_cmp_le_u32_e64 s[0:1], s26, v9
	v_cndmask_b32_e64 v11, 0, -1, vcc
	v_cmp_le_u32_e32 vcc, s26, v5
	v_cndmask_b32_e64 v9, 0, -1, s[0:1]
	v_cmp_eq_u32_e64 s[0:1], s27, v8
	v_cndmask_b32_e64 v5, 0, -1, vcc
	v_cmp_eq_u32_e32 vcc, s27, v3
	v_cndmask_b32_e64 v14, v12, v9, s[0:1]
	v_lshl_add_u64 v[8:9], v[6:7], 0, 2
	v_lshl_add_u64 v[12:13], v[6:7], 0, 1
	v_cmp_ne_u32_e64 s[0:1], 0, v14
	v_cndmask_b32_e32 v3, v11, v5, vcc
	v_cmp_ne_u32_e32 vcc, 0, v3
	v_cndmask_b32_e64 v5, v12, v8, s[0:1]
	v_cndmask_b32_e64 v9, v13, v9, s[0:1]
	v_cndmask_b32_e32 v5, v6, v5, vcc
	v_xor_b32_e32 v6, s22, v4
	v_cndmask_b32_e32 v3, v7, v9, vcc
	v_xor_b32_e32 v4, v5, v6
	v_xor_b32_e32 v3, v3, v6
	v_sub_co_u32_e32 v4, vcc, v4, v6
	s_nop 1
	v_subb_co_u32_e32 v5, vcc, v3, v6, vcc
	s_andn2_saveexec_b64 s[0:1], s[2:3]
	s_cbranch_execz .LBB54_5
.LBB54_7:                               ;   in Loop: Header=BB54_3 Depth=1
	s_sub_i32 s2, 0, s8
	v_mul_lo_u32 v3, s2, v10
	v_mul_hi_u32 v3, v10, v3
	v_add_u32_e32 v3, v10, v3
	v_mul_hi_u32 v3, v0, v3
	v_mul_lo_u32 v4, v3, s8
	v_sub_u32_e32 v4, v0, v4
	v_subrev_u32_e32 v5, s8, v4
	v_cmp_le_u32_e32 vcc, s8, v4
	s_nop 1
	v_cndmask_b32_e32 v4, v4, v5, vcc
	v_add_u32_e32 v5, 1, v3
	v_cndmask_b32_e32 v3, v3, v5, vcc
	v_add_u32_e32 v5, 1, v3
	v_cmp_le_u32_e32 vcc, s8, v4
	s_nop 1
	v_cndmask_b32_e32 v4, v3, v5, vcc
	v_mov_b32_e32 v5, v2
	s_or_b64 exec, exec, s[0:1]
	s_andn2_b64 vcc, exec, s[24:25]
	v_mov_b64_e32 v[6:7], 0
	s_cbranch_vccnz .LBB54_13
.LBB54_8:                               ;   in Loop: Header=BB54_3 Depth=1
	v_mov_b64_e32 v[6:7], s[6:7]
	v_mad_u64_u32 v[6:7], s[0:1], s8, v4, v[6:7]
	v_mul_lo_u32 v3, s8, v5
	v_mul_lo_u32 v8, s9, v4
	v_add3_u32 v3, v8, v7, v3
	v_sub_co_u32_e32 v6, vcc, v0, v6
                                        ; implicit-def: $vgpr8_vgpr9
	s_nop 1
	v_subb_co_u32_e32 v7, vcc, v1, v3, vcc
	v_or_b32_e32 v3, s19, v7
	v_cmp_ne_u64_e32 vcc, 0, v[2:3]
	s_and_saveexec_b64 s[0:1], vcc
	s_xor_b64 s[26:27], exec, s[0:1]
	s_cbranch_execz .LBB54_10
; %bb.9:                                ;   in Loop: Header=BB54_3 Depth=1
	s_ashr_i32 s0, s19, 31
	s_add_u32 s2, s18, s0
	s_mov_b32 s1, s0
	s_addc_u32 s3, s19, s0
	s_xor_b64 s[28:29], s[2:3], s[0:1]
	v_cvt_f32_u32_e32 v3, s28
	v_cvt_f32_u32_e32 v8, s29
	s_sub_u32 s2, 0, s28
	s_subb_u32 s3, 0, s29
	v_ashrrev_i32_e32 v12, 31, v7
	v_fmac_f32_e32 v3, 0x4f800000, v8
	v_rcp_f32_e32 v3, v3
	v_mov_b32_e32 v13, v12
	v_lshl_add_u64 v[6:7], v[6:7], 0, v[12:13]
	v_xor_b32_e32 v11, v6, v12
	v_mul_f32_e32 v3, 0x5f7ffffc, v3
	v_mul_f32_e32 v8, 0x2f800000, v3
	v_trunc_f32_e32 v8, v8
	v_fmac_f32_e32 v3, 0xcf800000, v8
	v_cvt_u32_f32_e32 v8, v8
	v_cvt_u32_f32_e32 v3, v3
	v_mov_b32_e32 v9, v2
	v_readfirstlane_b32 s23, v8
	v_readfirstlane_b32 s0, v3
	s_mul_i32 s1, s2, s23
	s_mul_hi_u32 s33, s2, s0
	s_mul_i32 s31, s3, s0
	s_add_i32 s1, s33, s1
	s_add_i32 s1, s1, s31
	s_mul_i32 s34, s2, s0
	s_mul_i32 s33, s0, s1
	s_mul_hi_u32 s35, s0, s34
	s_mul_hi_u32 s31, s0, s1
	s_add_u32 s33, s35, s33
	s_addc_u32 s31, 0, s31
	s_mul_hi_u32 s36, s23, s34
	s_mul_i32 s34, s23, s34
	s_add_u32 s33, s33, s34
	s_mul_hi_u32 s35, s23, s1
	s_addc_u32 s31, s31, s36
	s_addc_u32 s33, s35, 0
	s_mul_i32 s1, s23, s1
	s_add_u32 s1, s31, s1
	s_addc_u32 s31, 0, s33
	s_add_u32 s33, s0, s1
	s_cselect_b64 s[0:1], -1, 0
	s_cmp_lg_u64 s[0:1], 0
	s_addc_u32 s23, s23, s31
	s_mul_i32 s0, s2, s23
	s_mul_hi_u32 s1, s2, s33
	s_add_i32 s0, s1, s0
	s_mul_i32 s3, s3, s33
	s_add_i32 s0, s0, s3
	s_mul_i32 s2, s2, s33
	s_mul_hi_u32 s3, s23, s2
	s_mul_i32 s31, s23, s2
	s_mul_i32 s35, s33, s0
	s_mul_hi_u32 s2, s33, s2
	s_mul_hi_u32 s34, s33, s0
	s_add_u32 s2, s2, s35
	s_addc_u32 s34, 0, s34
	s_add_u32 s2, s2, s31
	s_mul_hi_u32 s1, s23, s0
	s_addc_u32 s2, s34, s3
	s_addc_u32 s1, s1, 0
	s_mul_i32 s0, s23, s0
	s_add_u32 s0, s2, s0
	s_addc_u32 s2, 0, s1
	s_add_u32 s3, s33, s0
	s_cselect_b64 s[0:1], -1, 0
	s_cmp_lg_u64 s[0:1], 0
	s_addc_u32 s2, s23, s2
	v_xor_b32_e32 v3, v7, v12
	v_mad_u64_u32 v[6:7], s[0:1], v11, s2, 0
	v_mul_hi_u32 v8, v11, s3
	v_lshl_add_u64 v[6:7], v[8:9], 0, v[6:7]
	v_mad_u64_u32 v[14:15], s[0:1], v3, s3, 0
	v_add_co_u32_e32 v6, vcc, v6, v14
	v_mad_u64_u32 v[8:9], s[0:1], v3, s2, 0
	s_nop 0
	v_addc_co_u32_e32 v6, vcc, v7, v15, vcc
	v_mov_b32_e32 v7, v2
	s_nop 0
	v_addc_co_u32_e32 v9, vcc, 0, v9, vcc
	v_lshl_add_u64 v[6:7], v[6:7], 0, v[8:9]
	v_mul_lo_u32 v8, s29, v6
	v_mul_lo_u32 v9, s28, v7
	v_mad_u64_u32 v[6:7], s[0:1], s28, v6, 0
	v_add3_u32 v7, v7, v9, v8
	v_sub_u32_e32 v8, v3, v7
	v_mov_b32_e32 v9, s29
	v_sub_co_u32_e32 v6, vcc, v11, v6
	s_nop 1
	v_subb_co_u32_e64 v8, s[0:1], v8, v9, vcc
	v_subrev_co_u32_e64 v11, s[0:1], s28, v6
	v_subb_co_u32_e32 v3, vcc, v3, v7, vcc
	s_nop 0
	v_subbrev_co_u32_e64 v13, s[2:3], 0, v8, s[0:1]
	v_cmp_le_u32_e64 s[2:3], s29, v13
	v_subb_co_u32_e64 v8, s[0:1], v8, v9, s[0:1]
	s_nop 0
	v_cndmask_b32_e64 v14, 0, -1, s[2:3]
	v_cmp_le_u32_e64 s[2:3], s28, v11
	v_subrev_co_u32_e64 v9, s[0:1], s28, v11
	s_nop 0
	v_cndmask_b32_e64 v15, 0, -1, s[2:3]
	v_cmp_eq_u32_e64 s[2:3], s29, v13
	v_subbrev_co_u32_e64 v8, s[0:1], 0, v8, s[0:1]
	s_nop 0
	v_cndmask_b32_e64 v14, v14, v15, s[2:3]
	v_cmp_le_u32_e32 vcc, s29, v3
	v_cmp_ne_u32_e64 s[0:1], 0, v14
	s_nop 0
	v_cndmask_b32_e64 v7, 0, -1, vcc
	v_cmp_le_u32_e32 vcc, s28, v6
	v_cndmask_b32_e64 v8, v13, v8, s[0:1]
	s_nop 0
	v_cndmask_b32_e64 v13, 0, -1, vcc
	v_cmp_eq_u32_e32 vcc, s29, v3
	s_nop 1
	v_cndmask_b32_e32 v7, v7, v13, vcc
	v_cmp_ne_u32_e32 vcc, 0, v7
	v_cndmask_b32_e64 v7, v11, v9, s[0:1]
	s_nop 0
	v_cndmask_b32_e32 v6, v6, v7, vcc
	v_cndmask_b32_e32 v3, v3, v8, vcc
	v_xor_b32_e32 v6, v6, v12
	v_xor_b32_e32 v3, v3, v12
	v_sub_co_u32_e32 v8, vcc, v6, v12
                                        ; implicit-def: $vgpr6
	s_nop 1
	v_subb_co_u32_e32 v9, vcc, v3, v12, vcc
.LBB54_10:                              ;   in Loop: Header=BB54_3 Depth=1
	s_andn2_saveexec_b64 s[0:1], s[26:27]
	s_cbranch_execz .LBB54_12
; %bb.11:                               ;   in Loop: Header=BB54_3 Depth=1
	v_cvt_f32_u32_e32 v3, s18
	s_sub_i32 s2, 0, s18
	v_mov_b32_e32 v9, v2
	v_rcp_iflag_f32_e32 v3, v3
	s_nop 0
	v_mul_f32_e32 v3, 0x4f7ffffe, v3
	v_cvt_u32_f32_e32 v3, v3
	v_mul_lo_u32 v7, s2, v3
	v_mul_hi_u32 v7, v3, v7
	v_add_u32_e32 v3, v3, v7
	v_mul_hi_u32 v3, v6, v3
	v_mul_lo_u32 v3, v3, s18
	v_sub_u32_e32 v3, v6, v3
	v_subrev_u32_e32 v6, s18, v3
	v_cmp_le_u32_e32 vcc, s18, v3
	s_nop 1
	v_cndmask_b32_e32 v3, v3, v6, vcc
	v_subrev_u32_e32 v6, s18, v3
	v_cmp_le_u32_e32 vcc, s18, v3
	s_nop 1
	v_cndmask_b32_e32 v8, v3, v6, vcc
.LBB54_12:                              ;   in Loop: Header=BB54_3 Depth=1
	s_or_b64 exec, exec, s[0:1]
	v_ashrrev_i32_e32 v3, 31, v9
	v_and_b32_e32 v7, s19, v3
	v_and_b32_e32 v6, s18, v3
	v_lshl_add_u64 v[6:7], v[6:7], 0, v[8:9]
	v_mov_b32_e32 v3, s19
	v_sub_co_u32_e32 v8, vcc, s18, v6
	s_nop 1
	v_subb_co_u32_e32 v3, vcc, v3, v7, vcc
	v_cmp_gt_i64_e32 vcc, s[4:5], v[6:7]
	s_nop 1
	v_cndmask_b32_e32 v7, v3, v7, vcc
	v_cndmask_b32_e32 v6, v8, v6, vcc
.LBB54_13:                              ;   in Loop: Header=BB54_3 Depth=1
	v_mul_lo_u32 v3, v5, s4
	v_mul_lo_u32 v8, v4, s5
	v_mad_u64_u32 v[4:5], s[0:1], v4, s4, 0
	v_add3_u32 v5, v5, v8, v3
	v_lshl_add_u64 v[4:5], v[4:5], 1, s[12:13]
	v_lshl_add_u64 v[4:5], v[6:7], 1, v[4:5]
	;; [unrolled: 1-line block ×3, first 2 shown]
	v_and_b32_e32 v8, 2, v4
	global_load_ushort v3, v[6:7], off
	v_sub_co_u32_e32 v6, vcc, 0, v8
	v_mov_b32_e32 v9, v2
	s_nop 0
	v_subb_co_u32_e64 v7, s[0:1], 0, 0, vcc
	v_lshl_add_u64 v[4:5], v[4:5], 0, v[6:7]
	global_load_dword v7, v[4:5], off
	s_mov_b64 s[26:27], 0
	v_cmp_eq_u64_e32 vcc, 0, v[8:9]
	v_cmp_ne_u32_e64 s[0:1], 0, v8
	s_branch .LBB54_15
.LBB54_14:                              ;   in Loop: Header=BB54_15 Depth=2
	s_or_b64 exec, exec, s[2:3]
	global_atomic_cmpswap v6, v[4:5], v[6:7], off sc0
	s_waitcnt vmcnt(0)
	v_cmp_eq_u32_e64 s[2:3], v7, v6
	s_or_b64 s[26:27], s[2:3], s[26:27]
	v_mov_b32_e32 v7, v6
	s_andn2_b64 exec, exec, s[26:27]
	s_cbranch_execz .LBB54_2
.LBB54_15:                              ;   Parent Loop BB54_3 Depth=1
                                        ; =>  This Inner Loop Header: Depth=2
	s_waitcnt vmcnt(0)
	v_cndmask_b32_sdwa v6, v7, v7, vcc dst_sel:DWORD dst_unused:UNUSED_PAD src0_sel:WORD_1 src1_sel:DWORD
	v_add_f16_e32 v8, v3, v6
	s_and_saveexec_b64 s[2:3], s[0:1]
	s_xor_b64 s[2:3], exec, s[2:3]
; %bb.16:                               ;   in Loop: Header=BB54_15 Depth=2
	v_and_b32_e32 v6, 0xffff, v7
	v_lshl_or_b32 v6, v8, 16, v6
                                        ; implicit-def: $vgpr8
; %bb.17:                               ;   in Loop: Header=BB54_15 Depth=2
	s_andn2_saveexec_b64 s[2:3], s[2:3]
	s_cbranch_execz .LBB54_14
; %bb.18:                               ;   in Loop: Header=BB54_15 Depth=2
	v_and_or_b32 v6, v7, s30, v8
	s_branch .LBB54_14
.LBB54_19:
	s_endpgm
	.section	.rodata,"a",@progbits
	.p2align	6, 0x0
	.amdhsa_kernel _ZN2at6native12_GLOBAL__N_130reflection_pad1d_backward_flatIN3c104HalfEEEvPT_PKS5_llll
		.amdhsa_group_segment_fixed_size 0
		.amdhsa_private_segment_fixed_size 0
		.amdhsa_kernarg_size 304
		.amdhsa_user_sgpr_count 2
		.amdhsa_user_sgpr_dispatch_ptr 0
		.amdhsa_user_sgpr_queue_ptr 0
		.amdhsa_user_sgpr_kernarg_segment_ptr 1
		.amdhsa_user_sgpr_dispatch_id 0
		.amdhsa_user_sgpr_kernarg_preload_length 0
		.amdhsa_user_sgpr_kernarg_preload_offset 0
		.amdhsa_user_sgpr_private_segment_size 0
		.amdhsa_uses_dynamic_stack 0
		.amdhsa_enable_private_segment 0
		.amdhsa_system_sgpr_workgroup_id_x 1
		.amdhsa_system_sgpr_workgroup_id_y 0
		.amdhsa_system_sgpr_workgroup_id_z 0
		.amdhsa_system_sgpr_workgroup_info 0
		.amdhsa_system_vgpr_workitem_id 0
		.amdhsa_next_free_vgpr 16
		.amdhsa_next_free_sgpr 37
		.amdhsa_accum_offset 16
		.amdhsa_reserve_vcc 1
		.amdhsa_float_round_mode_32 0
		.amdhsa_float_round_mode_16_64 0
		.amdhsa_float_denorm_mode_32 3
		.amdhsa_float_denorm_mode_16_64 3
		.amdhsa_dx10_clamp 1
		.amdhsa_ieee_mode 1
		.amdhsa_fp16_overflow 0
		.amdhsa_tg_split 0
		.amdhsa_exception_fp_ieee_invalid_op 0
		.amdhsa_exception_fp_denorm_src 0
		.amdhsa_exception_fp_ieee_div_zero 0
		.amdhsa_exception_fp_ieee_overflow 0
		.amdhsa_exception_fp_ieee_underflow 0
		.amdhsa_exception_fp_ieee_inexact 0
		.amdhsa_exception_int_div_zero 0
	.end_amdhsa_kernel
	.section	.text._ZN2at6native12_GLOBAL__N_130reflection_pad1d_backward_flatIN3c104HalfEEEvPT_PKS5_llll,"axG",@progbits,_ZN2at6native12_GLOBAL__N_130reflection_pad1d_backward_flatIN3c104HalfEEEvPT_PKS5_llll,comdat
.Lfunc_end54:
	.size	_ZN2at6native12_GLOBAL__N_130reflection_pad1d_backward_flatIN3c104HalfEEEvPT_PKS5_llll, .Lfunc_end54-_ZN2at6native12_GLOBAL__N_130reflection_pad1d_backward_flatIN3c104HalfEEEvPT_PKS5_llll
                                        ; -- End function
	.set _ZN2at6native12_GLOBAL__N_130reflection_pad1d_backward_flatIN3c104HalfEEEvPT_PKS5_llll.num_vgpr, 16
	.set _ZN2at6native12_GLOBAL__N_130reflection_pad1d_backward_flatIN3c104HalfEEEvPT_PKS5_llll.num_agpr, 0
	.set _ZN2at6native12_GLOBAL__N_130reflection_pad1d_backward_flatIN3c104HalfEEEvPT_PKS5_llll.numbered_sgpr, 37
	.set _ZN2at6native12_GLOBAL__N_130reflection_pad1d_backward_flatIN3c104HalfEEEvPT_PKS5_llll.num_named_barrier, 0
	.set _ZN2at6native12_GLOBAL__N_130reflection_pad1d_backward_flatIN3c104HalfEEEvPT_PKS5_llll.private_seg_size, 0
	.set _ZN2at6native12_GLOBAL__N_130reflection_pad1d_backward_flatIN3c104HalfEEEvPT_PKS5_llll.uses_vcc, 1
	.set _ZN2at6native12_GLOBAL__N_130reflection_pad1d_backward_flatIN3c104HalfEEEvPT_PKS5_llll.uses_flat_scratch, 0
	.set _ZN2at6native12_GLOBAL__N_130reflection_pad1d_backward_flatIN3c104HalfEEEvPT_PKS5_llll.has_dyn_sized_stack, 0
	.set _ZN2at6native12_GLOBAL__N_130reflection_pad1d_backward_flatIN3c104HalfEEEvPT_PKS5_llll.has_recursion, 0
	.set _ZN2at6native12_GLOBAL__N_130reflection_pad1d_backward_flatIN3c104HalfEEEvPT_PKS5_llll.has_indirect_call, 0
	.section	.AMDGPU.csdata,"",@progbits
; Kernel info:
; codeLenInByte = 2108
; TotalNumSgprs: 43
; NumVgprs: 16
; NumAgprs: 0
; TotalNumVgprs: 16
; ScratchSize: 0
; MemoryBound: 0
; FloatMode: 240
; IeeeMode: 1
; LDSByteSize: 0 bytes/workgroup (compile time only)
; SGPRBlocks: 5
; VGPRBlocks: 1
; NumSGPRsForWavesPerEU: 43
; NumVGPRsForWavesPerEU: 16
; AccumOffset: 16
; Occupancy: 8
; WaveLimiterHint : 0
; COMPUTE_PGM_RSRC2:SCRATCH_EN: 0
; COMPUTE_PGM_RSRC2:USER_SGPR: 2
; COMPUTE_PGM_RSRC2:TRAP_HANDLER: 0
; COMPUTE_PGM_RSRC2:TGID_X_EN: 1
; COMPUTE_PGM_RSRC2:TGID_Y_EN: 0
; COMPUTE_PGM_RSRC2:TGID_Z_EN: 0
; COMPUTE_PGM_RSRC2:TIDIG_COMP_CNT: 0
; COMPUTE_PGM_RSRC3_GFX90A:ACCUM_OFFSET: 3
; COMPUTE_PGM_RSRC3_GFX90A:TG_SPLIT: 0
	.section	.text._ZN2at6native12_GLOBAL__N_136reflection_pad1d_backward_out_kernelIN3c108BFloat16EEEvPT_PKS5_lll,"axG",@progbits,_ZN2at6native12_GLOBAL__N_136reflection_pad1d_backward_out_kernelIN3c108BFloat16EEEvPT_PKS5_lll,comdat
	.globl	_ZN2at6native12_GLOBAL__N_136reflection_pad1d_backward_out_kernelIN3c108BFloat16EEEvPT_PKS5_lll ; -- Begin function _ZN2at6native12_GLOBAL__N_136reflection_pad1d_backward_out_kernelIN3c108BFloat16EEEvPT_PKS5_lll
	.p2align	8
	.type	_ZN2at6native12_GLOBAL__N_136reflection_pad1d_backward_out_kernelIN3c108BFloat16EEEvPT_PKS5_lll,@function
_ZN2at6native12_GLOBAL__N_136reflection_pad1d_backward_out_kernelIN3c108BFloat16EEEvPT_PKS5_lll: ; @_ZN2at6native12_GLOBAL__N_136reflection_pad1d_backward_out_kernelIN3c108BFloat16EEEvPT_PKS5_lll
; %bb.0:
	s_load_dword s5, s[0:1], 0x34
	s_load_dwordx2 s[16:17], s[0:1], 0x20
	s_load_dwordx8 s[8:15], s[0:1], 0x0
	s_add_u32 s6, s0, 40
	s_addc_u32 s7, s1, 0
	s_waitcnt lgkmcnt(0)
	s_and_b32 s0, s5, 0xffff
	v_mov_b32_e32 v1, 0
	v_mov_b32_e32 v2, s2
	s_add_u32 s2, s14, s12
	v_mad_u64_u32 v[2:3], s[0:1], s0, v2, v[0:1]
	s_addc_u32 s5, s15, s13
	s_add_u32 s0, s2, s16
	s_addc_u32 s1, s5, s17
	v_cmp_gt_i64_e32 vcc, s[0:1], v[2:3]
	s_and_saveexec_b64 s[16:17], vcc
	s_cbranch_execz .LBB55_3
; %bb.1:
	s_load_dword s16, s[6:7], 0x4
	s_sub_u32 s6, 0, s14
	v_mov_b32_e32 v0, s15
	v_subrev_co_u32_e32 v6, vcc, s14, v2
	s_waitcnt lgkmcnt(0)
	s_mul_i32 s4, s16, s4
	s_subb_u32 s7, 0, s15
	s_add_i32 s4, s4, s3
	v_subb_co_u32_e32 v0, vcc, v3, v0, vcc
	v_mov_b32_e32 v4, s8
	s_mul_i32 s3, s13, s4
	s_mul_hi_u32 s8, s12, s4
	v_ashrrev_i32_e32 v7, 31, v0
	v_mov_b32_e32 v5, s9
	s_add_i32 s9, s8, s3
	s_mul_i32 s1, s1, s4
	s_mul_hi_u32 s3, s0, s4
	v_xor_b32_e32 v6, v6, v7
	s_mul_i32 s8, s12, s4
	s_add_i32 s1, s3, s1
	v_cmp_gt_i64_e64 s[12:13], s[6:7], 0
	v_xor_b32_e32 v0, v0, v7
	v_sub_co_u32_e32 v6, vcc, v6, v7
	s_and_b64 s[12:13], s[12:13], exec
	s_nop 0
	v_subb_co_u32_e32 v7, vcc, v0, v7, vcc
	s_mul_i32 s0, s0, s4
	s_cselect_b32 s4, s7, 0
	s_cselect_b32 s12, s6, 0
	v_cmp_gt_i64_e64 s[6:7], s[14:15], 0
	v_mov_b32_e32 v0, s5
	v_subrev_co_u32_e32 v8, vcc, s2, v2
	s_and_b64 s[6:7], s[6:7], exec
	s_nop 0
	v_subb_co_u32_e32 v9, vcc, v3, v0, vcc
	s_cselect_b32 s7, s15, 0
	s_cselect_b32 s6, s14, 0
	v_lshl_add_u64 v[8:9], v[8:9], 0, 1
	s_add_u32 s13, s2, s14
	v_ashrrev_i32_e32 v0, 31, v9
	s_addc_u32 s5, s5, s15
	s_not_b64 s[2:3], s[6:7]
	v_xor_b32_e32 v8, v8, v0
	s_add_u32 s2, s13, s2
	v_xor_b32_e32 v9, v9, v0
	v_sub_co_u32_e32 v8, vcc, v8, v0
	s_addc_u32 s3, s5, s3
	s_nop 0
	v_subb_co_u32_e32 v9, vcc, v9, v0, vcc
	s_add_u32 s2, s2, s12
	v_lshl_add_u64 v[8:9], v[2:3], 0, v[8:9]
	s_addc_u32 s3, s3, s4
	v_mov_b32_e32 v0, s3
	v_sub_co_u32_e32 v8, vcc, s2, v8
	s_lshl_b64 s[0:1], s[0:1], 1
	s_nop 0
	v_subb_co_u32_e32 v9, vcc, v0, v9, vcc
	v_lshl_add_u64 v[4:5], v[8:9], 1, v[4:5]
	v_lshl_add_u64 v[4:5], v[6:7], 1, v[4:5]
	s_add_u32 s0, s10, s0
	v_lshl_add_u64 v[4:5], s[8:9], 1, v[4:5]
	s_addc_u32 s1, s11, s1
	v_lshl_add_u64 v[2:3], v[2:3], 1, s[0:1]
	v_and_b32_e32 v0, 2, v4
	global_load_ushort v6, v[2:3], off
	v_sub_co_u32_e32 v2, vcc, 0, v0
	s_mov_b64 s[2:3], 0
	s_nop 0
	v_subb_co_u32_e64 v3, s[0:1], 0, 0, vcc
	v_lshl_add_u64 v[2:3], v[4:5], 0, v[2:3]
	global_load_dword v5, v[2:3], off
	v_cmp_eq_u64_e64 s[0:1], 0, v[0:1]
	s_movk_i32 s4, 0x7fff
	v_mov_b32_e32 v1, 0x7fc0
	s_mov_b32 s5, 0xffff0000
	s_waitcnt vmcnt(1)
	v_lshlrev_b32_e32 v0, 16, v6
.LBB55_2:                               ; =>This Inner Loop Header: Depth=1
	s_mov_b64 vcc, s[0:1]
	s_waitcnt vmcnt(0)
	v_and_b32_e32 v4, 0xffff, v5
	v_cndmask_b32_sdwa v6, v5, v4, vcc dst_sel:WORD_1 dst_unused:UNUSED_PAD src0_sel:WORD_1 src1_sel:DWORD
	s_nop 0
	v_add_f32_e32 v6, v0, v6
	v_bfe_u32 v7, v6, 16, 1
	v_cmp_o_f32_e32 vcc, v6, v6
	v_add3_u32 v6, v6, v7, s4
	s_nop 0
	v_cndmask_b32_sdwa v6, v1, v6, vcc dst_sel:DWORD dst_unused:UNUSED_PAD src0_sel:DWORD src1_sel:WORD_1
	v_lshl_or_b32 v4, v6, 16, v4
	v_and_or_b32 v6, v5, s5, v6
	v_cndmask_b32_e64 v4, v4, v6, s[0:1]
	global_atomic_cmpswap v4, v[2:3], v[4:5], off sc0
	s_waitcnt vmcnt(0)
	v_cmp_eq_u32_e32 vcc, v5, v4
	s_or_b64 s[2:3], vcc, s[2:3]
	v_mov_b32_e32 v5, v4
	s_andn2_b64 exec, exec, s[2:3]
	s_cbranch_execnz .LBB55_2
.LBB55_3:
	s_endpgm
	.section	.rodata,"a",@progbits
	.p2align	6, 0x0
	.amdhsa_kernel _ZN2at6native12_GLOBAL__N_136reflection_pad1d_backward_out_kernelIN3c108BFloat16EEEvPT_PKS5_lll
		.amdhsa_group_segment_fixed_size 0
		.amdhsa_private_segment_fixed_size 0
		.amdhsa_kernarg_size 296
		.amdhsa_user_sgpr_count 2
		.amdhsa_user_sgpr_dispatch_ptr 0
		.amdhsa_user_sgpr_queue_ptr 0
		.amdhsa_user_sgpr_kernarg_segment_ptr 1
		.amdhsa_user_sgpr_dispatch_id 0
		.amdhsa_user_sgpr_kernarg_preload_length 0
		.amdhsa_user_sgpr_kernarg_preload_offset 0
		.amdhsa_user_sgpr_private_segment_size 0
		.amdhsa_uses_dynamic_stack 0
		.amdhsa_enable_private_segment 0
		.amdhsa_system_sgpr_workgroup_id_x 1
		.amdhsa_system_sgpr_workgroup_id_y 1
		.amdhsa_system_sgpr_workgroup_id_z 1
		.amdhsa_system_sgpr_workgroup_info 0
		.amdhsa_system_vgpr_workitem_id 0
		.amdhsa_next_free_vgpr 10
		.amdhsa_next_free_sgpr 18
		.amdhsa_accum_offset 12
		.amdhsa_reserve_vcc 1
		.amdhsa_float_round_mode_32 0
		.amdhsa_float_round_mode_16_64 0
		.amdhsa_float_denorm_mode_32 3
		.amdhsa_float_denorm_mode_16_64 3
		.amdhsa_dx10_clamp 1
		.amdhsa_ieee_mode 1
		.amdhsa_fp16_overflow 0
		.amdhsa_tg_split 0
		.amdhsa_exception_fp_ieee_invalid_op 0
		.amdhsa_exception_fp_denorm_src 0
		.amdhsa_exception_fp_ieee_div_zero 0
		.amdhsa_exception_fp_ieee_overflow 0
		.amdhsa_exception_fp_ieee_underflow 0
		.amdhsa_exception_fp_ieee_inexact 0
		.amdhsa_exception_int_div_zero 0
	.end_amdhsa_kernel
	.section	.text._ZN2at6native12_GLOBAL__N_136reflection_pad1d_backward_out_kernelIN3c108BFloat16EEEvPT_PKS5_lll,"axG",@progbits,_ZN2at6native12_GLOBAL__N_136reflection_pad1d_backward_out_kernelIN3c108BFloat16EEEvPT_PKS5_lll,comdat
.Lfunc_end55:
	.size	_ZN2at6native12_GLOBAL__N_136reflection_pad1d_backward_out_kernelIN3c108BFloat16EEEvPT_PKS5_lll, .Lfunc_end55-_ZN2at6native12_GLOBAL__N_136reflection_pad1d_backward_out_kernelIN3c108BFloat16EEEvPT_PKS5_lll
                                        ; -- End function
	.set _ZN2at6native12_GLOBAL__N_136reflection_pad1d_backward_out_kernelIN3c108BFloat16EEEvPT_PKS5_lll.num_vgpr, 10
	.set _ZN2at6native12_GLOBAL__N_136reflection_pad1d_backward_out_kernelIN3c108BFloat16EEEvPT_PKS5_lll.num_agpr, 0
	.set _ZN2at6native12_GLOBAL__N_136reflection_pad1d_backward_out_kernelIN3c108BFloat16EEEvPT_PKS5_lll.numbered_sgpr, 18
	.set _ZN2at6native12_GLOBAL__N_136reflection_pad1d_backward_out_kernelIN3c108BFloat16EEEvPT_PKS5_lll.num_named_barrier, 0
	.set _ZN2at6native12_GLOBAL__N_136reflection_pad1d_backward_out_kernelIN3c108BFloat16EEEvPT_PKS5_lll.private_seg_size, 0
	.set _ZN2at6native12_GLOBAL__N_136reflection_pad1d_backward_out_kernelIN3c108BFloat16EEEvPT_PKS5_lll.uses_vcc, 1
	.set _ZN2at6native12_GLOBAL__N_136reflection_pad1d_backward_out_kernelIN3c108BFloat16EEEvPT_PKS5_lll.uses_flat_scratch, 0
	.set _ZN2at6native12_GLOBAL__N_136reflection_pad1d_backward_out_kernelIN3c108BFloat16EEEvPT_PKS5_lll.has_dyn_sized_stack, 0
	.set _ZN2at6native12_GLOBAL__N_136reflection_pad1d_backward_out_kernelIN3c108BFloat16EEEvPT_PKS5_lll.has_recursion, 0
	.set _ZN2at6native12_GLOBAL__N_136reflection_pad1d_backward_out_kernelIN3c108BFloat16EEEvPT_PKS5_lll.has_indirect_call, 0
	.section	.AMDGPU.csdata,"",@progbits
; Kernel info:
; codeLenInByte = 584
; TotalNumSgprs: 24
; NumVgprs: 10
; NumAgprs: 0
; TotalNumVgprs: 10
; ScratchSize: 0
; MemoryBound: 0
; FloatMode: 240
; IeeeMode: 1
; LDSByteSize: 0 bytes/workgroup (compile time only)
; SGPRBlocks: 2
; VGPRBlocks: 1
; NumSGPRsForWavesPerEU: 24
; NumVGPRsForWavesPerEU: 10
; AccumOffset: 12
; Occupancy: 8
; WaveLimiterHint : 0
; COMPUTE_PGM_RSRC2:SCRATCH_EN: 0
; COMPUTE_PGM_RSRC2:USER_SGPR: 2
; COMPUTE_PGM_RSRC2:TRAP_HANDLER: 0
; COMPUTE_PGM_RSRC2:TGID_X_EN: 1
; COMPUTE_PGM_RSRC2:TGID_Y_EN: 1
; COMPUTE_PGM_RSRC2:TGID_Z_EN: 1
; COMPUTE_PGM_RSRC2:TIDIG_COMP_CNT: 0
; COMPUTE_PGM_RSRC3_GFX90A:ACCUM_OFFSET: 2
; COMPUTE_PGM_RSRC3_GFX90A:TG_SPLIT: 0
	.section	.text._ZN2at6native12_GLOBAL__N_130reflection_pad1d_backward_flatIN3c108BFloat16EEEvPT_PKS5_llll,"axG",@progbits,_ZN2at6native12_GLOBAL__N_130reflection_pad1d_backward_flatIN3c108BFloat16EEEvPT_PKS5_llll,comdat
	.globl	_ZN2at6native12_GLOBAL__N_130reflection_pad1d_backward_flatIN3c108BFloat16EEEvPT_PKS5_llll ; -- Begin function _ZN2at6native12_GLOBAL__N_130reflection_pad1d_backward_flatIN3c108BFloat16EEEvPT_PKS5_llll
	.p2align	8
	.type	_ZN2at6native12_GLOBAL__N_130reflection_pad1d_backward_flatIN3c108BFloat16EEEvPT_PKS5_llll,@function
_ZN2at6native12_GLOBAL__N_130reflection_pad1d_backward_flatIN3c108BFloat16EEEvPT_PKS5_llll: ; @_ZN2at6native12_GLOBAL__N_130reflection_pad1d_backward_flatIN3c108BFloat16EEEvPT_PKS5_llll
; %bb.0:
	s_load_dword s3, s[0:1], 0x3c
	s_load_dwordx8 s[4:11], s[0:1], 0x10
	s_add_u32 s16, s0, 48
	v_mov_b32_e32 v2, 0
	s_addc_u32 s17, s1, 0
	s_waitcnt lgkmcnt(0)
	s_and_b32 s3, s3, 0xffff
	s_mul_i32 s12, s10, s9
	s_mul_hi_u32 s13, s10, s8
	v_mov_b32_e32 v1, v2
	s_add_i32 s12, s13, s12
	s_mul_i32 s11, s11, s8
	v_mov_b32_e32 v3, s2
	s_add_i32 s11, s12, s11
	s_mul_i32 s10, s10, s8
	v_mad_u64_u32 v[0:1], s[12:13], s3, v3, v[0:1]
	v_cmp_gt_i64_e32 vcc, s[10:11], v[0:1]
	s_and_saveexec_b64 s[12:13], vcc
	s_cbranch_execz .LBB56_15
; %bb.1:
	v_cvt_f32_u32_e32 v3, s8
	s_load_dword s2, s[16:17], 0x0
	s_load_dwordx4 s[12:15], s[0:1], 0x0
	s_lshl_b64 s[0:1], s[4:5], 1
	s_add_u32 s18, s0, -2
	v_rcp_iflag_f32_e32 v3, v3
	s_addc_u32 s19, s1, -1
	s_waitcnt lgkmcnt(0)
	s_mul_hi_u32 s17, s3, s2
	s_mul_i32 s16, s3, s2
	v_mul_f32_e32 v3, 0x4f7ffffe, v3
	v_cvt_u32_f32_e32 v10, v3
	s_mov_b64 s[20:21], 0
	s_ashr_i32 s22, s9, 31
	s_movk_i32 s30, 0x7fff
	s_mov_b32 s31, 0xffff0000
	v_cmp_gt_i64_e64 s[24:25], s[18:19], 0
	v_mov_b32_e32 v11, 0x7fc0
.LBB56_2:                               ; =>This Loop Header: Depth=1
                                        ;     Child Loop BB56_13 Depth 2
	v_or_b32_e32 v3, s9, v1
	v_cmp_ne_u64_e32 vcc, 0, v[2:3]
                                        ; implicit-def: $vgpr4_vgpr5
	s_and_saveexec_b64 s[0:1], vcc
	s_xor_b64 s[2:3], exec, s[0:1]
	s_cbranch_execnz .LBB56_5
; %bb.3:                                ;   in Loop: Header=BB56_2 Depth=1
	s_andn2_saveexec_b64 s[0:1], s[2:3]
	s_cbranch_execnz .LBB56_6
.LBB56_4:                               ;   in Loop: Header=BB56_2 Depth=1
	s_or_b64 exec, exec, s[0:1]
	s_andn2_b64 vcc, exec, s[24:25]
	v_mov_b64_e32 v[6:7], 0
	s_cbranch_vccz .LBB56_7
	s_branch .LBB56_12
.LBB56_5:                               ;   in Loop: Header=BB56_2 Depth=1
	s_add_u32 s0, s8, s22
	s_mov_b32 s23, s22
	s_addc_u32 s1, s9, s22
	s_xor_b64 s[26:27], s[0:1], s[22:23]
	v_cvt_f32_u32_e32 v3, s26
	v_cvt_f32_u32_e32 v4, s27
	s_sub_u32 s23, 0, s26
	s_subb_u32 s28, 0, s27
	v_mov_b32_e32 v9, v2
	v_fmac_f32_e32 v3, 0x4f800000, v4
	v_rcp_f32_e32 v3, v3
	s_nop 0
	v_mul_f32_e32 v3, 0x5f7ffffc, v3
	v_mul_f32_e32 v4, 0x2f800000, v3
	v_trunc_f32_e32 v4, v4
	v_fmac_f32_e32 v3, 0xcf800000, v4
	v_cvt_u32_f32_e32 v4, v4
	v_cvt_u32_f32_e32 v3, v3
	v_readfirstlane_b32 s29, v4
	v_readfirstlane_b32 s0, v3
	s_mul_i32 s1, s23, s29
	s_mul_hi_u32 s34, s23, s0
	s_mul_i32 s33, s28, s0
	s_add_i32 s1, s34, s1
	s_add_i32 s1, s1, s33
	s_mul_i32 s35, s23, s0
	s_mul_i32 s34, s0, s1
	s_mul_hi_u32 s36, s0, s35
	s_mul_hi_u32 s33, s0, s1
	s_add_u32 s34, s36, s34
	s_addc_u32 s33, 0, s33
	s_mul_hi_u32 s37, s29, s35
	s_mul_i32 s35, s29, s35
	s_add_u32 s34, s34, s35
	s_mul_hi_u32 s36, s29, s1
	s_addc_u32 s33, s33, s37
	s_addc_u32 s34, s36, 0
	s_mul_i32 s1, s29, s1
	s_add_u32 s1, s33, s1
	s_addc_u32 s33, 0, s34
	s_add_u32 s34, s0, s1
	s_cselect_b64 s[0:1], -1, 0
	s_cmp_lg_u64 s[0:1], 0
	s_addc_u32 s29, s29, s33
	s_mul_i32 s0, s23, s29
	s_mul_hi_u32 s1, s23, s34
	s_add_i32 s0, s1, s0
	s_mul_i32 s28, s28, s34
	s_add_i32 s0, s0, s28
	s_mul_i32 s23, s23, s34
	s_mul_hi_u32 s28, s29, s23
	s_mul_i32 s33, s29, s23
	s_mul_i32 s36, s34, s0
	s_mul_hi_u32 s23, s34, s23
	s_mul_hi_u32 s35, s34, s0
	s_add_u32 s23, s23, s36
	s_addc_u32 s35, 0, s35
	s_add_u32 s23, s23, s33
	s_mul_hi_u32 s1, s29, s0
	s_addc_u32 s23, s35, s28
	s_addc_u32 s1, s1, 0
	s_mul_i32 s0, s29, s0
	s_add_u32 s0, s23, s0
	s_addc_u32 s23, 0, s1
	s_add_u32 s28, s34, s0
	v_ashrrev_i32_e32 v4, 31, v1
	s_cselect_b64 s[0:1], -1, 0
	v_mov_b32_e32 v5, v4
	s_cmp_lg_u64 s[0:1], 0
	v_lshl_add_u64 v[6:7], v[0:1], 0, v[4:5]
	s_addc_u32 s23, s29, s23
	v_xor_b32_e32 v5, v6, v4
	v_xor_b32_e32 v3, v7, v4
	v_mad_u64_u32 v[6:7], s[0:1], v5, s23, 0
	v_mul_hi_u32 v8, v5, s28
	v_lshl_add_u64 v[6:7], v[8:9], 0, v[6:7]
	v_mad_u64_u32 v[12:13], s[0:1], v3, s28, 0
	v_add_co_u32_e32 v6, vcc, v6, v12
	v_mad_u64_u32 v[8:9], s[0:1], v3, s23, 0
	s_nop 0
	v_addc_co_u32_e32 v6, vcc, v7, v13, vcc
	v_mov_b32_e32 v7, v2
	s_nop 0
	v_addc_co_u32_e32 v9, vcc, 0, v9, vcc
	v_lshl_add_u64 v[6:7], v[6:7], 0, v[8:9]
	v_mul_lo_u32 v12, s27, v6
	v_mul_lo_u32 v13, s26, v7
	v_mad_u64_u32 v[8:9], s[0:1], s26, v6, 0
	v_add3_u32 v14, v9, v13, v12
	v_sub_u32_e32 v9, v3, v14
	v_mov_b32_e32 v12, s27
	v_sub_co_u32_e32 v5, vcc, v5, v8
	s_nop 1
	v_subb_co_u32_e64 v8, s[0:1], v9, v12, vcc
	v_subrev_co_u32_e64 v9, s[0:1], s26, v5
	v_subb_co_u32_e32 v3, vcc, v3, v14, vcc
	s_nop 0
	v_subbrev_co_u32_e64 v8, s[0:1], 0, v8, s[0:1]
	v_cmp_le_u32_e64 s[0:1], s27, v8
	v_cmp_le_u32_e32 vcc, s27, v3
	s_nop 0
	v_cndmask_b32_e64 v12, 0, -1, s[0:1]
	v_cmp_le_u32_e64 s[0:1], s26, v9
	s_nop 1
	v_cndmask_b32_e64 v9, 0, -1, s[0:1]
	v_cmp_eq_u32_e64 s[0:1], s27, v8
	s_nop 1
	v_cndmask_b32_e64 v15, v12, v9, s[0:1]
	v_lshl_add_u64 v[8:9], v[6:7], 0, 2
	v_lshl_add_u64 v[12:13], v[6:7], 0, 1
	v_cmp_ne_u32_e64 s[0:1], 0, v15
	s_nop 1
	v_cndmask_b32_e64 v9, v13, v9, s[0:1]
	v_cndmask_b32_e64 v13, 0, -1, vcc
	v_cmp_le_u32_e32 vcc, s26, v5
	s_nop 1
	v_cndmask_b32_e64 v5, 0, -1, vcc
	v_cmp_eq_u32_e32 vcc, s27, v3
	s_nop 1
	v_cndmask_b32_e32 v3, v13, v5, vcc
	v_cmp_ne_u32_e32 vcc, 0, v3
	v_cndmask_b32_e64 v5, v12, v8, s[0:1]
	s_nop 0
	v_cndmask_b32_e32 v5, v6, v5, vcc
	v_xor_b32_e32 v6, s22, v4
	v_cndmask_b32_e32 v3, v7, v9, vcc
	v_xor_b32_e32 v4, v5, v6
	v_xor_b32_e32 v3, v3, v6
	v_sub_co_u32_e32 v4, vcc, v4, v6
	s_nop 1
	v_subb_co_u32_e32 v5, vcc, v3, v6, vcc
	s_andn2_saveexec_b64 s[0:1], s[2:3]
	s_cbranch_execz .LBB56_4
.LBB56_6:                               ;   in Loop: Header=BB56_2 Depth=1
	s_sub_i32 s2, 0, s8
	v_mul_lo_u32 v3, s2, v10
	v_mul_hi_u32 v3, v10, v3
	v_add_u32_e32 v3, v10, v3
	v_mul_hi_u32 v3, v0, v3
	v_mul_lo_u32 v4, v3, s8
	v_sub_u32_e32 v4, v0, v4
	v_subrev_u32_e32 v5, s8, v4
	v_cmp_le_u32_e32 vcc, s8, v4
	s_nop 1
	v_cndmask_b32_e32 v4, v4, v5, vcc
	v_add_u32_e32 v5, 1, v3
	v_cndmask_b32_e32 v3, v3, v5, vcc
	v_add_u32_e32 v5, 1, v3
	v_cmp_le_u32_e32 vcc, s8, v4
	s_nop 1
	v_cndmask_b32_e32 v4, v3, v5, vcc
	v_mov_b32_e32 v5, v2
	s_or_b64 exec, exec, s[0:1]
	s_andn2_b64 vcc, exec, s[24:25]
	v_mov_b64_e32 v[6:7], 0
	s_cbranch_vccnz .LBB56_12
.LBB56_7:                               ;   in Loop: Header=BB56_2 Depth=1
	v_mov_b64_e32 v[6:7], s[6:7]
	v_mad_u64_u32 v[6:7], s[0:1], s8, v4, v[6:7]
	v_mul_lo_u32 v3, s8, v5
	v_mul_lo_u32 v8, s9, v4
	v_add3_u32 v3, v8, v7, v3
	v_sub_co_u32_e32 v6, vcc, v0, v6
                                        ; implicit-def: $vgpr8_vgpr9
	s_nop 1
	v_subb_co_u32_e32 v7, vcc, v1, v3, vcc
	v_or_b32_e32 v3, s19, v7
	v_cmp_ne_u64_e32 vcc, 0, v[2:3]
	s_and_saveexec_b64 s[0:1], vcc
	s_xor_b64 s[26:27], exec, s[0:1]
	s_cbranch_execz .LBB56_9
; %bb.8:                                ;   in Loop: Header=BB56_2 Depth=1
	s_ashr_i32 s0, s19, 31
	s_add_u32 s2, s18, s0
	s_mov_b32 s1, s0
	s_addc_u32 s3, s19, s0
	s_xor_b64 s[28:29], s[2:3], s[0:1]
	v_cvt_f32_u32_e32 v3, s28
	v_cvt_f32_u32_e32 v8, s29
	s_sub_u32 s2, 0, s28
	s_subb_u32 s3, 0, s29
	v_ashrrev_i32_e32 v12, 31, v7
	v_fmac_f32_e32 v3, 0x4f800000, v8
	v_rcp_f32_e32 v3, v3
	v_mov_b32_e32 v13, v12
	v_lshl_add_u64 v[6:7], v[6:7], 0, v[12:13]
	v_xor_b32_e32 v13, v6, v12
	v_mul_f32_e32 v3, 0x5f7ffffc, v3
	v_mul_f32_e32 v8, 0x2f800000, v3
	v_trunc_f32_e32 v8, v8
	v_fmac_f32_e32 v3, 0xcf800000, v8
	v_cvt_u32_f32_e32 v8, v8
	v_cvt_u32_f32_e32 v3, v3
	v_mov_b32_e32 v9, v2
	v_readfirstlane_b32 s23, v8
	v_readfirstlane_b32 s0, v3
	s_mul_i32 s1, s2, s23
	s_mul_hi_u32 s34, s2, s0
	s_mul_i32 s33, s3, s0
	s_add_i32 s1, s34, s1
	s_add_i32 s1, s1, s33
	s_mul_i32 s35, s2, s0
	s_mul_i32 s34, s0, s1
	s_mul_hi_u32 s36, s0, s35
	s_mul_hi_u32 s33, s0, s1
	s_add_u32 s34, s36, s34
	s_addc_u32 s33, 0, s33
	s_mul_hi_u32 s37, s23, s35
	s_mul_i32 s35, s23, s35
	s_add_u32 s34, s34, s35
	s_mul_hi_u32 s36, s23, s1
	s_addc_u32 s33, s33, s37
	s_addc_u32 s34, s36, 0
	s_mul_i32 s1, s23, s1
	s_add_u32 s1, s33, s1
	s_addc_u32 s33, 0, s34
	s_add_u32 s34, s0, s1
	s_cselect_b64 s[0:1], -1, 0
	s_cmp_lg_u64 s[0:1], 0
	s_addc_u32 s23, s23, s33
	s_mul_i32 s0, s2, s23
	s_mul_hi_u32 s1, s2, s34
	s_add_i32 s0, s1, s0
	s_mul_i32 s3, s3, s34
	s_add_i32 s0, s0, s3
	s_mul_i32 s2, s2, s34
	s_mul_hi_u32 s3, s23, s2
	s_mul_i32 s33, s23, s2
	s_mul_i32 s36, s34, s0
	s_mul_hi_u32 s2, s34, s2
	s_mul_hi_u32 s35, s34, s0
	s_add_u32 s2, s2, s36
	s_addc_u32 s35, 0, s35
	s_add_u32 s2, s2, s33
	s_mul_hi_u32 s1, s23, s0
	s_addc_u32 s2, s35, s3
	s_addc_u32 s1, s1, 0
	s_mul_i32 s0, s23, s0
	s_add_u32 s0, s2, s0
	s_addc_u32 s2, 0, s1
	s_add_u32 s3, s34, s0
	s_cselect_b64 s[0:1], -1, 0
	s_cmp_lg_u64 s[0:1], 0
	s_addc_u32 s2, s23, s2
	v_xor_b32_e32 v3, v7, v12
	v_mad_u64_u32 v[6:7], s[0:1], v13, s2, 0
	v_mul_hi_u32 v8, v13, s3
	v_lshl_add_u64 v[6:7], v[8:9], 0, v[6:7]
	v_mad_u64_u32 v[14:15], s[0:1], v3, s3, 0
	v_add_co_u32_e32 v6, vcc, v6, v14
	v_mad_u64_u32 v[8:9], s[0:1], v3, s2, 0
	s_nop 0
	v_addc_co_u32_e32 v6, vcc, v7, v15, vcc
	v_mov_b32_e32 v7, v2
	s_nop 0
	v_addc_co_u32_e32 v9, vcc, 0, v9, vcc
	v_lshl_add_u64 v[6:7], v[6:7], 0, v[8:9]
	v_mul_lo_u32 v8, s29, v6
	v_mul_lo_u32 v9, s28, v7
	v_mad_u64_u32 v[6:7], s[0:1], s28, v6, 0
	v_add3_u32 v7, v7, v9, v8
	v_sub_u32_e32 v8, v3, v7
	v_mov_b32_e32 v9, s29
	v_sub_co_u32_e32 v6, vcc, v13, v6
	s_nop 1
	v_subb_co_u32_e64 v8, s[0:1], v8, v9, vcc
	v_subrev_co_u32_e64 v13, s[0:1], s28, v6
	v_subb_co_u32_e32 v3, vcc, v3, v7, vcc
	s_nop 0
	v_subbrev_co_u32_e64 v14, s[2:3], 0, v8, s[0:1]
	v_cmp_le_u32_e64 s[2:3], s29, v14
	v_subb_co_u32_e64 v8, s[0:1], v8, v9, s[0:1]
	s_nop 0
	v_cndmask_b32_e64 v15, 0, -1, s[2:3]
	v_cmp_le_u32_e64 s[2:3], s28, v13
	v_subrev_co_u32_e64 v9, s[0:1], s28, v13
	s_nop 0
	v_cndmask_b32_e64 v16, 0, -1, s[2:3]
	v_cmp_eq_u32_e64 s[2:3], s29, v14
	v_subbrev_co_u32_e64 v8, s[0:1], 0, v8, s[0:1]
	s_nop 0
	v_cndmask_b32_e64 v15, v15, v16, s[2:3]
	v_cmp_le_u32_e32 vcc, s29, v3
	v_cmp_ne_u32_e64 s[0:1], 0, v15
	s_nop 0
	v_cndmask_b32_e64 v7, 0, -1, vcc
	v_cmp_le_u32_e32 vcc, s28, v6
	v_cndmask_b32_e64 v8, v14, v8, s[0:1]
	s_nop 0
	v_cndmask_b32_e64 v14, 0, -1, vcc
	v_cmp_eq_u32_e32 vcc, s29, v3
	s_nop 1
	v_cndmask_b32_e32 v7, v7, v14, vcc
	v_cmp_ne_u32_e32 vcc, 0, v7
	v_cndmask_b32_e64 v7, v13, v9, s[0:1]
	s_nop 0
	v_cndmask_b32_e32 v6, v6, v7, vcc
	v_cndmask_b32_e32 v3, v3, v8, vcc
	v_xor_b32_e32 v6, v6, v12
	v_xor_b32_e32 v3, v3, v12
	v_sub_co_u32_e32 v8, vcc, v6, v12
                                        ; implicit-def: $vgpr6
	s_nop 1
	v_subb_co_u32_e32 v9, vcc, v3, v12, vcc
.LBB56_9:                               ;   in Loop: Header=BB56_2 Depth=1
	s_andn2_saveexec_b64 s[0:1], s[26:27]
	s_cbranch_execz .LBB56_11
; %bb.10:                               ;   in Loop: Header=BB56_2 Depth=1
	v_cvt_f32_u32_e32 v3, s18
	s_sub_i32 s2, 0, s18
	v_mov_b32_e32 v9, v2
	v_rcp_iflag_f32_e32 v3, v3
	s_nop 0
	v_mul_f32_e32 v3, 0x4f7ffffe, v3
	v_cvt_u32_f32_e32 v3, v3
	v_mul_lo_u32 v7, s2, v3
	v_mul_hi_u32 v7, v3, v7
	v_add_u32_e32 v3, v3, v7
	v_mul_hi_u32 v3, v6, v3
	v_mul_lo_u32 v3, v3, s18
	v_sub_u32_e32 v3, v6, v3
	v_subrev_u32_e32 v6, s18, v3
	v_cmp_le_u32_e32 vcc, s18, v3
	s_nop 1
	v_cndmask_b32_e32 v3, v3, v6, vcc
	v_subrev_u32_e32 v6, s18, v3
	v_cmp_le_u32_e32 vcc, s18, v3
	s_nop 1
	v_cndmask_b32_e32 v8, v3, v6, vcc
.LBB56_11:                              ;   in Loop: Header=BB56_2 Depth=1
	s_or_b64 exec, exec, s[0:1]
	v_ashrrev_i32_e32 v3, 31, v9
	v_and_b32_e32 v7, s19, v3
	v_and_b32_e32 v6, s18, v3
	v_lshl_add_u64 v[6:7], v[6:7], 0, v[8:9]
	v_mov_b32_e32 v3, s19
	v_sub_co_u32_e32 v8, vcc, s18, v6
	s_nop 1
	v_subb_co_u32_e32 v3, vcc, v3, v7, vcc
	v_cmp_gt_i64_e32 vcc, s[4:5], v[6:7]
	s_nop 1
	v_cndmask_b32_e32 v7, v3, v7, vcc
	v_cndmask_b32_e32 v6, v8, v6, vcc
.LBB56_12:                              ;   in Loop: Header=BB56_2 Depth=1
	v_mul_lo_u32 v3, v5, s4
	v_mul_lo_u32 v8, v4, s5
	v_mad_u64_u32 v[4:5], s[0:1], v4, s4, 0
	v_add3_u32 v5, v5, v8, v3
	v_lshl_add_u64 v[4:5], v[4:5], 1, s[12:13]
	v_lshl_add_u64 v[4:5], v[6:7], 1, v[4:5]
	v_and_b32_e32 v12, 2, v4
	v_sub_co_u32_e32 v6, vcc, 0, v12
	v_lshl_add_u64 v[8:9], v[0:1], 1, s[14:15]
	s_nop 0
	v_subb_co_u32_e64 v7, s[0:1], 0, 0, vcc
	v_lshl_add_u64 v[4:5], v[4:5], 0, v[6:7]
	global_load_ushort v3, v[8:9], off
	global_load_dword v7, v[4:5], off
	v_mov_b32_e32 v13, v2
	s_mov_b64 s[2:3], 0
	v_cmp_eq_u64_e64 s[0:1], 0, v[12:13]
	s_waitcnt vmcnt(1)
	v_lshlrev_b32_e32 v3, 16, v3
.LBB56_13:                              ;   Parent Loop BB56_2 Depth=1
                                        ; =>  This Inner Loop Header: Depth=2
	s_mov_b64 vcc, s[0:1]
	s_waitcnt vmcnt(0)
	v_and_b32_e32 v6, 0xffff, v7
	v_cndmask_b32_sdwa v8, v7, v6, vcc dst_sel:WORD_1 dst_unused:UNUSED_PAD src0_sel:WORD_1 src1_sel:DWORD
	s_nop 0
	v_add_f32_e32 v8, v3, v8
	v_bfe_u32 v9, v8, 16, 1
	v_cmp_o_f32_e32 vcc, v8, v8
	v_add3_u32 v8, v8, v9, s30
	s_nop 0
	v_cndmask_b32_sdwa v8, v11, v8, vcc dst_sel:DWORD dst_unused:UNUSED_PAD src0_sel:DWORD src1_sel:WORD_1
	v_lshl_or_b32 v6, v8, 16, v6
	v_and_or_b32 v8, v7, s31, v8
	v_cndmask_b32_e64 v6, v6, v8, s[0:1]
	global_atomic_cmpswap v6, v[4:5], v[6:7], off sc0
	s_waitcnt vmcnt(0)
	v_cmp_eq_u32_e32 vcc, v7, v6
	s_or_b64 s[2:3], vcc, s[2:3]
	v_mov_b32_e32 v7, v6
	s_andn2_b64 exec, exec, s[2:3]
	s_cbranch_execnz .LBB56_13
; %bb.14:                               ;   in Loop: Header=BB56_2 Depth=1
	s_or_b64 exec, exec, s[2:3]
	v_lshl_add_u64 v[0:1], v[0:1], 0, s[16:17]
	v_cmp_le_i64_e32 vcc, s[10:11], v[0:1]
	s_or_b64 s[20:21], vcc, s[20:21]
	s_andn2_b64 exec, exec, s[20:21]
	s_cbranch_execnz .LBB56_2
.LBB56_15:
	s_endpgm
	.section	.rodata,"a",@progbits
	.p2align	6, 0x0
	.amdhsa_kernel _ZN2at6native12_GLOBAL__N_130reflection_pad1d_backward_flatIN3c108BFloat16EEEvPT_PKS5_llll
		.amdhsa_group_segment_fixed_size 0
		.amdhsa_private_segment_fixed_size 0
		.amdhsa_kernarg_size 304
		.amdhsa_user_sgpr_count 2
		.amdhsa_user_sgpr_dispatch_ptr 0
		.amdhsa_user_sgpr_queue_ptr 0
		.amdhsa_user_sgpr_kernarg_segment_ptr 1
		.amdhsa_user_sgpr_dispatch_id 0
		.amdhsa_user_sgpr_kernarg_preload_length 0
		.amdhsa_user_sgpr_kernarg_preload_offset 0
		.amdhsa_user_sgpr_private_segment_size 0
		.amdhsa_uses_dynamic_stack 0
		.amdhsa_enable_private_segment 0
		.amdhsa_system_sgpr_workgroup_id_x 1
		.amdhsa_system_sgpr_workgroup_id_y 0
		.amdhsa_system_sgpr_workgroup_id_z 0
		.amdhsa_system_sgpr_workgroup_info 0
		.amdhsa_system_vgpr_workitem_id 0
		.amdhsa_next_free_vgpr 17
		.amdhsa_next_free_sgpr 38
		.amdhsa_accum_offset 20
		.amdhsa_reserve_vcc 1
		.amdhsa_float_round_mode_32 0
		.amdhsa_float_round_mode_16_64 0
		.amdhsa_float_denorm_mode_32 3
		.amdhsa_float_denorm_mode_16_64 3
		.amdhsa_dx10_clamp 1
		.amdhsa_ieee_mode 1
		.amdhsa_fp16_overflow 0
		.amdhsa_tg_split 0
		.amdhsa_exception_fp_ieee_invalid_op 0
		.amdhsa_exception_fp_denorm_src 0
		.amdhsa_exception_fp_ieee_div_zero 0
		.amdhsa_exception_fp_ieee_overflow 0
		.amdhsa_exception_fp_ieee_underflow 0
		.amdhsa_exception_fp_ieee_inexact 0
		.amdhsa_exception_int_div_zero 0
	.end_amdhsa_kernel
	.section	.text._ZN2at6native12_GLOBAL__N_130reflection_pad1d_backward_flatIN3c108BFloat16EEEvPT_PKS5_llll,"axG",@progbits,_ZN2at6native12_GLOBAL__N_130reflection_pad1d_backward_flatIN3c108BFloat16EEEvPT_PKS5_llll,comdat
.Lfunc_end56:
	.size	_ZN2at6native12_GLOBAL__N_130reflection_pad1d_backward_flatIN3c108BFloat16EEEvPT_PKS5_llll, .Lfunc_end56-_ZN2at6native12_GLOBAL__N_130reflection_pad1d_backward_flatIN3c108BFloat16EEEvPT_PKS5_llll
                                        ; -- End function
	.set _ZN2at6native12_GLOBAL__N_130reflection_pad1d_backward_flatIN3c108BFloat16EEEvPT_PKS5_llll.num_vgpr, 17
	.set _ZN2at6native12_GLOBAL__N_130reflection_pad1d_backward_flatIN3c108BFloat16EEEvPT_PKS5_llll.num_agpr, 0
	.set _ZN2at6native12_GLOBAL__N_130reflection_pad1d_backward_flatIN3c108BFloat16EEEvPT_PKS5_llll.numbered_sgpr, 38
	.set _ZN2at6native12_GLOBAL__N_130reflection_pad1d_backward_flatIN3c108BFloat16EEEvPT_PKS5_llll.num_named_barrier, 0
	.set _ZN2at6native12_GLOBAL__N_130reflection_pad1d_backward_flatIN3c108BFloat16EEEvPT_PKS5_llll.private_seg_size, 0
	.set _ZN2at6native12_GLOBAL__N_130reflection_pad1d_backward_flatIN3c108BFloat16EEEvPT_PKS5_llll.uses_vcc, 1
	.set _ZN2at6native12_GLOBAL__N_130reflection_pad1d_backward_flatIN3c108BFloat16EEEvPT_PKS5_llll.uses_flat_scratch, 0
	.set _ZN2at6native12_GLOBAL__N_130reflection_pad1d_backward_flatIN3c108BFloat16EEEvPT_PKS5_llll.has_dyn_sized_stack, 0
	.set _ZN2at6native12_GLOBAL__N_130reflection_pad1d_backward_flatIN3c108BFloat16EEEvPT_PKS5_llll.has_recursion, 0
	.set _ZN2at6native12_GLOBAL__N_130reflection_pad1d_backward_flatIN3c108BFloat16EEEvPT_PKS5_llll.has_indirect_call, 0
	.section	.AMDGPU.csdata,"",@progbits
; Kernel info:
; codeLenInByte = 2160
; TotalNumSgprs: 44
; NumVgprs: 17
; NumAgprs: 0
; TotalNumVgprs: 17
; ScratchSize: 0
; MemoryBound: 0
; FloatMode: 240
; IeeeMode: 1
; LDSByteSize: 0 bytes/workgroup (compile time only)
; SGPRBlocks: 5
; VGPRBlocks: 2
; NumSGPRsForWavesPerEU: 44
; NumVGPRsForWavesPerEU: 17
; AccumOffset: 20
; Occupancy: 8
; WaveLimiterHint : 0
; COMPUTE_PGM_RSRC2:SCRATCH_EN: 0
; COMPUTE_PGM_RSRC2:USER_SGPR: 2
; COMPUTE_PGM_RSRC2:TRAP_HANDLER: 0
; COMPUTE_PGM_RSRC2:TGID_X_EN: 1
; COMPUTE_PGM_RSRC2:TGID_Y_EN: 0
; COMPUTE_PGM_RSRC2:TGID_Z_EN: 0
; COMPUTE_PGM_RSRC2:TIDIG_COMP_CNT: 0
; COMPUTE_PGM_RSRC3_GFX90A:ACCUM_OFFSET: 4
; COMPUTE_PGM_RSRC3_GFX90A:TG_SPLIT: 0
	.section	.text._ZN2at6native12_GLOBAL__N_127reflection_pad3d_out_kernelIhEEvN5torch10headeronly6detail27GenericPackedTensorAccessorINS5_14TensorAccessorIN3c108ArrayRefIlEEKT_Lm4ENS4_16DefaultPtrTraitsElEENS_6detail16IndexBoundsCheckILm5ElEESC_Lm5ESD_lEENS6_INS7_ISA_SB_Lm4ESD_lEESH_SB_Lm5ESD_lEElllll,"axG",@progbits,_ZN2at6native12_GLOBAL__N_127reflection_pad3d_out_kernelIhEEvN5torch10headeronly6detail27GenericPackedTensorAccessorINS5_14TensorAccessorIN3c108ArrayRefIlEEKT_Lm4ENS4_16DefaultPtrTraitsElEENS_6detail16IndexBoundsCheckILm5ElEESC_Lm5ESD_lEENS6_INS7_ISA_SB_Lm4ESD_lEESH_SB_Lm5ESD_lEElllll,comdat
	.globl	_ZN2at6native12_GLOBAL__N_127reflection_pad3d_out_kernelIhEEvN5torch10headeronly6detail27GenericPackedTensorAccessorINS5_14TensorAccessorIN3c108ArrayRefIlEEKT_Lm4ENS4_16DefaultPtrTraitsElEENS_6detail16IndexBoundsCheckILm5ElEESC_Lm5ESD_lEENS6_INS7_ISA_SB_Lm4ESD_lEESH_SB_Lm5ESD_lEElllll ; -- Begin function _ZN2at6native12_GLOBAL__N_127reflection_pad3d_out_kernelIhEEvN5torch10headeronly6detail27GenericPackedTensorAccessorINS5_14TensorAccessorIN3c108ArrayRefIlEEKT_Lm4ENS4_16DefaultPtrTraitsElEENS_6detail16IndexBoundsCheckILm5ElEESC_Lm5ESD_lEENS6_INS7_ISA_SB_Lm4ESD_lEESH_SB_Lm5ESD_lEElllll
	.p2align	8
	.type	_ZN2at6native12_GLOBAL__N_127reflection_pad3d_out_kernelIhEEvN5torch10headeronly6detail27GenericPackedTensorAccessorINS5_14TensorAccessorIN3c108ArrayRefIlEEKT_Lm4ENS4_16DefaultPtrTraitsElEENS_6detail16IndexBoundsCheckILm5ElEESC_Lm5ESD_lEENS6_INS7_ISA_SB_Lm4ESD_lEESH_SB_Lm5ESD_lEElllll,@function
_ZN2at6native12_GLOBAL__N_127reflection_pad3d_out_kernelIhEEvN5torch10headeronly6detail27GenericPackedTensorAccessorINS5_14TensorAccessorIN3c108ArrayRefIlEEKT_Lm4ENS4_16DefaultPtrTraitsElEENS_6detail16IndexBoundsCheckILm5ElEESC_Lm5ESD_lEENS6_INS7_ISA_SB_Lm4ESD_lEESH_SB_Lm5ESD_lEElllll: ; @_ZN2at6native12_GLOBAL__N_127reflection_pad3d_out_kernelIhEEvN5torch10headeronly6detail27GenericPackedTensorAccessorINS5_14TensorAccessorIN3c108ArrayRefIlEEKT_Lm4ENS4_16DefaultPtrTraitsElEENS_6detail16IndexBoundsCheckILm5ElEESC_Lm5ESD_lEENS6_INS7_ISA_SB_Lm4ESD_lEESH_SB_Lm5ESD_lEElllll
; %bb.0:
	s_load_dword s5, s[0:1], 0xe4
	s_load_dwordx4 s[8:11], s[0:1], 0x70
	s_load_dwordx2 s[34:35], s[0:1], 0x80
	v_mov_b32_e32 v2, 0
	v_mov_b32_e32 v1, v2
	s_waitcnt lgkmcnt(0)
	s_and_b32 s5, s5, 0xffff
	v_mov_b32_e32 v3, s2
	v_mad_u64_u32 v[0:1], s[6:7], s5, v3, v[0:1]
	s_mul_i32 s2, s34, s11
	s_mul_hi_u32 s5, s34, s10
	s_add_i32 s5, s5, s2
	s_mul_i32 s2, s35, s10
	s_add_i32 s5, s5, s2
	s_mul_i32 s2, s34, s10
	s_mul_i32 s6, s2, s9
	s_mul_hi_u32 s7, s2, s8
	s_add_i32 s6, s7, s6
	s_mul_i32 s7, s5, s8
	s_add_i32 s7, s6, s7
	s_mul_i32 s6, s2, s8
	v_cmp_gt_i64_e32 vcc, s[6:7], v[0:1]
	s_and_saveexec_b64 s[6:7], vcc
	s_cbranch_execz .LBB57_14
; %bb.1:
	v_or_b32_e32 v3, s35, v1
	v_cmp_ne_u64_e32 vcc, 0, v[2:3]
	v_ashrrev_i32_e32 v2, 31, v1
                                        ; implicit-def: $vgpr6_vgpr7
	s_and_saveexec_b64 s[6:7], vcc
	s_xor_b64 s[8:9], exec, s[6:7]
	s_cbranch_execz .LBB57_3
; %bb.2:
	s_ashr_i32 s12, s35, 31
	s_add_u32 s6, s34, s12
	s_mov_b32 s13, s12
	s_addc_u32 s7, s35, s12
	s_xor_b64 s[14:15], s[6:7], s[12:13]
	v_cvt_f32_u32_e32 v3, s14
	v_cvt_f32_u32_e32 v4, s15
	s_sub_u32 s13, 0, s14
	s_subb_u32 s16, 0, s15
	v_mov_b32_e32 v7, 0
	v_fmamk_f32 v3, v4, 0x4f800000, v3
	v_rcp_f32_e32 v3, v3
	s_nop 0
	v_mul_f32_e32 v3, 0x5f7ffffc, v3
	v_mul_f32_e32 v4, 0x2f800000, v3
	v_trunc_f32_e32 v4, v4
	v_fmamk_f32 v3, v4, 0xcf800000, v3
	v_cvt_u32_f32_e32 v4, v4
	v_cvt_u32_f32_e32 v3, v3
	v_readfirstlane_b32 s17, v4
	v_readfirstlane_b32 s6, v3
	s_mul_i32 s7, s13, s17
	s_mul_hi_u32 s19, s13, s6
	s_mul_i32 s18, s16, s6
	s_add_i32 s7, s19, s7
	s_add_i32 s7, s7, s18
	s_mul_i32 s20, s13, s6
	s_mul_i32 s19, s6, s7
	s_mul_hi_u32 s21, s6, s20
	s_mul_hi_u32 s18, s6, s7
	s_add_u32 s19, s21, s19
	s_addc_u32 s18, 0, s18
	s_mul_hi_u32 s22, s17, s20
	s_mul_i32 s20, s17, s20
	s_add_u32 s19, s19, s20
	s_mul_hi_u32 s21, s17, s7
	s_addc_u32 s18, s18, s22
	s_addc_u32 s19, s21, 0
	s_mul_i32 s7, s17, s7
	s_add_u32 s7, s18, s7
	s_addc_u32 s18, 0, s19
	s_add_u32 s19, s6, s7
	s_cselect_b64 s[6:7], -1, 0
	s_cmp_lg_u64 s[6:7], 0
	s_addc_u32 s17, s17, s18
	s_mul_i32 s6, s13, s17
	s_mul_hi_u32 s7, s13, s19
	s_add_i32 s6, s7, s6
	s_mul_i32 s16, s16, s19
	s_add_i32 s6, s6, s16
	s_mul_i32 s13, s13, s19
	s_mul_hi_u32 s16, s17, s13
	s_mul_i32 s18, s17, s13
	s_mul_i32 s21, s19, s6
	s_mul_hi_u32 s13, s19, s13
	s_mul_hi_u32 s20, s19, s6
	s_add_u32 s13, s13, s21
	s_addc_u32 s20, 0, s20
	s_add_u32 s13, s13, s18
	s_mul_hi_u32 s7, s17, s6
	s_addc_u32 s13, s20, s16
	s_addc_u32 s7, s7, 0
	s_mul_i32 s6, s17, s6
	s_add_u32 s6, s13, s6
	s_addc_u32 s13, 0, s7
	s_add_u32 s16, s19, s6
	s_cselect_b64 s[6:7], -1, 0
	v_mov_b32_e32 v3, v2
	s_cmp_lg_u64 s[6:7], 0
	v_lshl_add_u64 v[4:5], v[0:1], 0, v[2:3]
	s_addc_u32 s13, s17, s13
	v_xor_b32_e32 v12, v4, v2
	v_xor_b32_e32 v3, v5, v2
	v_mad_u64_u32 v[4:5], s[6:7], v12, s13, 0
	v_mul_hi_u32 v6, v12, s16
	v_lshl_add_u64 v[4:5], v[6:7], 0, v[4:5]
	v_mad_u64_u32 v[10:11], s[6:7], v3, s16, 0
	v_add_co_u32_e32 v4, vcc, v4, v10
	v_mad_u64_u32 v[8:9], s[6:7], v3, s13, 0
	s_nop 0
	v_addc_co_u32_e32 v6, vcc, v5, v11, vcc
	s_nop 1
	v_addc_co_u32_e32 v9, vcc, 0, v9, vcc
	v_lshl_add_u64 v[4:5], v[6:7], 0, v[8:9]
	v_mul_lo_u32 v8, s15, v4
	v_mul_lo_u32 v9, s14, v5
	v_mad_u64_u32 v[6:7], s[6:7], s14, v4, 0
	v_add3_u32 v10, v7, v9, v8
	v_sub_u32_e32 v7, v3, v10
	v_mov_b32_e32 v8, s15
	v_sub_co_u32_e32 v11, vcc, v12, v6
	s_nop 1
	v_subb_co_u32_e64 v6, s[6:7], v7, v8, vcc
	v_subrev_co_u32_e64 v7, s[6:7], s14, v11
	v_subb_co_u32_e32 v3, vcc, v3, v10, vcc
	s_nop 0
	v_subbrev_co_u32_e64 v6, s[6:7], 0, v6, s[6:7]
	v_cmp_le_u32_e64 s[6:7], s15, v6
	v_cmp_le_u32_e32 vcc, s15, v3
	s_nop 0
	v_cndmask_b32_e64 v8, 0, -1, s[6:7]
	v_cmp_le_u32_e64 s[6:7], s14, v7
	s_nop 1
	v_cndmask_b32_e64 v7, 0, -1, s[6:7]
	v_cmp_eq_u32_e64 s[6:7], s15, v6
	s_nop 1
	v_cndmask_b32_e64 v12, v8, v7, s[6:7]
	v_lshl_add_u64 v[6:7], v[4:5], 0, 2
	v_lshl_add_u64 v[8:9], v[4:5], 0, 1
	v_cmp_ne_u32_e64 s[6:7], 0, v12
	s_nop 1
	v_cndmask_b32_e64 v7, v9, v7, s[6:7]
	v_cndmask_b32_e64 v9, 0, -1, vcc
	v_cmp_le_u32_e32 vcc, s14, v11
	s_nop 1
	v_cndmask_b32_e64 v10, 0, -1, vcc
	v_cmp_eq_u32_e32 vcc, s15, v3
	s_nop 1
	v_cndmask_b32_e32 v3, v9, v10, vcc
	v_cmp_ne_u32_e32 vcc, 0, v3
	s_nop 1
	v_cndmask_b32_e32 v3, v5, v7, vcc
	v_cndmask_b32_e64 v5, v8, v6, s[6:7]
	v_cndmask_b32_e32 v4, v4, v5, vcc
	v_xor_b32_e32 v5, s12, v2
	v_xor_b32_e32 v4, v4, v5
	;; [unrolled: 1-line block ×3, first 2 shown]
	v_sub_co_u32_e32 v6, vcc, v4, v5
	s_nop 1
	v_subb_co_u32_e32 v7, vcc, v3, v5, vcc
.LBB57_3:
	s_andn2_saveexec_b64 s[6:7], s[8:9]
	s_cbranch_execz .LBB57_5
; %bb.4:
	v_cvt_f32_u32_e32 v3, s34
	s_sub_i32 s8, 0, s34
	v_mov_b32_e32 v7, 0
	v_rcp_iflag_f32_e32 v3, v3
	s_nop 0
	v_mul_f32_e32 v3, 0x4f7ffffe, v3
	v_cvt_u32_f32_e32 v3, v3
	v_mul_lo_u32 v4, s8, v3
	v_mul_hi_u32 v4, v3, v4
	v_add_u32_e32 v3, v3, v4
	v_mul_hi_u32 v3, v0, v3
	v_mul_lo_u32 v4, v3, s34
	v_sub_u32_e32 v4, v0, v4
	v_add_u32_e32 v5, 1, v3
	v_subrev_u32_e32 v6, s34, v4
	v_cmp_le_u32_e32 vcc, s34, v4
	s_nop 1
	v_cndmask_b32_e32 v4, v4, v6, vcc
	v_cndmask_b32_e32 v3, v3, v5, vcc
	v_add_u32_e32 v5, 1, v3
	v_cmp_le_u32_e32 vcc, s34, v4
	s_nop 1
	v_cndmask_b32_e32 v6, v3, v5, vcc
.LBB57_5:
	s_or_b64 exec, exec, s[6:7]
	v_or_b32_e32 v9, s11, v7
	v_mov_b32_e32 v8, 0
	v_cmp_ne_u64_e32 vcc, 0, v[8:9]
                                        ; implicit-def: $vgpr4_vgpr5
	s_and_saveexec_b64 s[6:7], vcc
	s_xor_b64 s[12:13], exec, s[6:7]
	s_cbranch_execz .LBB57_7
; %bb.6:
	s_ashr_i32 s6, s11, 31
	s_add_u32 s8, s10, s6
	s_mov_b32 s7, s6
	s_addc_u32 s9, s11, s6
	s_xor_b64 s[14:15], s[8:9], s[6:7]
	v_cvt_f32_u32_e32 v3, s14
	v_cvt_f32_u32_e32 v4, s15
	s_sub_u32 s8, 0, s14
	s_subb_u32 s9, 0, s15
	v_ashrrev_i32_e32 v10, 31, v7
	v_fmamk_f32 v3, v4, 0x4f800000, v3
	v_rcp_f32_e32 v3, v3
	v_mov_b32_e32 v11, v10
	v_mov_b32_e32 v13, v8
	v_mul_f32_e32 v3, 0x5f7ffffc, v3
	v_mul_f32_e32 v4, 0x2f800000, v3
	v_trunc_f32_e32 v4, v4
	v_fmamk_f32 v3, v4, 0xcf800000, v3
	v_cvt_u32_f32_e32 v4, v4
	v_cvt_u32_f32_e32 v3, v3
	v_readfirstlane_b32 s11, v4
	v_readfirstlane_b32 s6, v3
	s_mul_i32 s7, s8, s11
	s_mul_hi_u32 s17, s8, s6
	s_mul_i32 s16, s9, s6
	s_add_i32 s7, s17, s7
	s_add_i32 s7, s7, s16
	s_mul_i32 s18, s8, s6
	s_mul_i32 s17, s6, s7
	s_mul_hi_u32 s19, s6, s18
	s_mul_hi_u32 s16, s6, s7
	s_add_u32 s17, s19, s17
	s_addc_u32 s16, 0, s16
	s_mul_hi_u32 s20, s11, s18
	s_mul_i32 s18, s11, s18
	s_add_u32 s17, s17, s18
	s_mul_hi_u32 s19, s11, s7
	s_addc_u32 s16, s16, s20
	s_addc_u32 s17, s19, 0
	s_mul_i32 s7, s11, s7
	s_add_u32 s7, s16, s7
	s_addc_u32 s16, 0, s17
	s_add_u32 s17, s6, s7
	s_cselect_b64 s[6:7], -1, 0
	s_cmp_lg_u64 s[6:7], 0
	s_addc_u32 s11, s11, s16
	s_mul_i32 s6, s8, s11
	s_mul_hi_u32 s7, s8, s17
	s_add_i32 s6, s7, s6
	s_mul_i32 s9, s9, s17
	s_add_i32 s6, s6, s9
	s_mul_i32 s8, s8, s17
	s_mul_hi_u32 s9, s11, s8
	s_mul_i32 s16, s11, s8
	s_mul_i32 s19, s17, s6
	s_mul_hi_u32 s8, s17, s8
	s_mul_hi_u32 s18, s17, s6
	s_add_u32 s8, s8, s19
	s_addc_u32 s18, 0, s18
	s_add_u32 s8, s8, s16
	s_mul_hi_u32 s7, s11, s6
	s_addc_u32 s8, s18, s9
	s_addc_u32 s7, s7, 0
	s_mul_i32 s6, s11, s6
	s_add_u32 s6, s8, s6
	s_addc_u32 s8, 0, s7
	s_add_u32 s9, s17, s6
	s_cselect_b64 s[6:7], -1, 0
	s_cmp_lg_u64 s[6:7], 0
	v_lshl_add_u64 v[4:5], v[6:7], 0, v[10:11]
	s_addc_u32 s8, s11, s8
	v_xor_b32_e32 v9, v4, v10
	v_xor_b32_e32 v3, v5, v10
	v_mad_u64_u32 v[4:5], s[6:7], v9, s8, 0
	v_mul_hi_u32 v12, v9, s9
	v_lshl_add_u64 v[4:5], v[12:13], 0, v[4:5]
	v_mad_u64_u32 v[14:15], s[6:7], v3, s9, 0
	v_add_co_u32_e32 v4, vcc, v4, v14
	v_mad_u64_u32 v[12:13], s[6:7], v3, s8, 0
	s_nop 0
	v_addc_co_u32_e32 v4, vcc, v5, v15, vcc
	v_mov_b32_e32 v5, v8
	s_nop 0
	v_addc_co_u32_e32 v13, vcc, 0, v13, vcc
	v_lshl_add_u64 v[4:5], v[4:5], 0, v[12:13]
	v_mul_lo_u32 v8, s15, v4
	v_mul_lo_u32 v11, s14, v5
	v_mad_u64_u32 v[4:5], s[6:7], s14, v4, 0
	v_add3_u32 v5, v5, v11, v8
	v_sub_u32_e32 v8, v3, v5
	v_mov_b32_e32 v11, s15
	v_sub_co_u32_e32 v4, vcc, v9, v4
	s_nop 1
	v_subb_co_u32_e64 v8, s[6:7], v8, v11, vcc
	v_subrev_co_u32_e64 v9, s[6:7], s14, v4
	v_subb_co_u32_e32 v3, vcc, v3, v5, vcc
	s_nop 0
	v_subbrev_co_u32_e64 v12, s[8:9], 0, v8, s[6:7]
	v_cmp_le_u32_e64 s[8:9], s15, v12
	v_subb_co_u32_e64 v8, s[6:7], v8, v11, s[6:7]
	s_nop 0
	v_cndmask_b32_e64 v13, 0, -1, s[8:9]
	v_cmp_le_u32_e64 s[8:9], s14, v9
	v_subrev_co_u32_e64 v11, s[6:7], s14, v9
	s_nop 0
	v_cndmask_b32_e64 v14, 0, -1, s[8:9]
	v_cmp_eq_u32_e64 s[8:9], s15, v12
	v_subbrev_co_u32_e64 v8, s[6:7], 0, v8, s[6:7]
	s_nop 0
	v_cndmask_b32_e64 v13, v13, v14, s[8:9]
	v_cmp_le_u32_e32 vcc, s15, v3
	v_cmp_ne_u32_e64 s[6:7], 0, v13
	s_nop 0
	v_cndmask_b32_e64 v5, 0, -1, vcc
	v_cmp_le_u32_e32 vcc, s14, v4
	v_cndmask_b32_e64 v8, v12, v8, s[6:7]
	s_nop 0
	v_cndmask_b32_e64 v12, 0, -1, vcc
	v_cmp_eq_u32_e32 vcc, s15, v3
	s_nop 1
	v_cndmask_b32_e32 v5, v5, v12, vcc
	v_cmp_ne_u32_e32 vcc, 0, v5
	v_cndmask_b32_e64 v5, v9, v11, s[6:7]
	s_nop 0
	v_cndmask_b32_e32 v4, v4, v5, vcc
	v_cndmask_b32_e32 v3, v3, v8, vcc
	v_xor_b32_e32 v4, v4, v10
	v_xor_b32_e32 v3, v3, v10
	v_sub_co_u32_e32 v4, vcc, v4, v10
	s_nop 1
	v_subb_co_u32_e32 v5, vcc, v3, v10, vcc
.LBB57_7:
	s_or_saveexec_b64 s[6:7], s[12:13]
	s_load_dwordx2 s[44:45], s[0:1], 0xa8
	s_load_dwordx8 s[24:31], s[0:1], 0x88
	s_xor_b64 exec, exec, s[6:7]
	s_cbranch_execz .LBB57_9
; %bb.8:
	v_cvt_f32_u32_e32 v3, s10
	s_sub_i32 s8, 0, s10
	v_mov_b32_e32 v5, 0
	v_rcp_iflag_f32_e32 v3, v3
	s_nop 0
	v_mul_f32_e32 v3, 0x4f7ffffe, v3
	v_cvt_u32_f32_e32 v3, v3
	v_mul_lo_u32 v4, s8, v3
	v_mul_hi_u32 v4, v3, v4
	v_add_u32_e32 v3, v3, v4
	v_mul_hi_u32 v3, v6, v3
	v_mul_lo_u32 v3, v3, s10
	v_sub_u32_e32 v3, v6, v3
	v_subrev_u32_e32 v4, s10, v3
	v_cmp_le_u32_e32 vcc, s10, v3
	s_nop 1
	v_cndmask_b32_e32 v3, v3, v4, vcc
	v_subrev_u32_e32 v4, s10, v3
	v_cmp_le_u32_e32 vcc, s10, v3
	s_nop 1
	v_cndmask_b32_e32 v4, v3, v4, vcc
.LBB57_9:
	s_or_b64 exec, exec, s[6:7]
	s_load_dwordx2 s[46:47], s[0:1], 0x58
	s_load_dwordx2 s[48:49], s[0:1], 0x0
	v_or_b32_e32 v11, s5, v1
	v_mov_b32_e32 v10, 0
	v_cmp_ne_u64_e32 vcc, 0, v[10:11]
                                        ; implicit-def: $vgpr8_vgpr9
	s_and_saveexec_b64 s[6:7], vcc
	s_xor_b64 s[8:9], exec, s[6:7]
	s_cbranch_execz .LBB57_11
; %bb.10:
	s_ashr_i32 s10, s5, 31
	s_add_u32 s6, s2, s10
	s_mov_b32 s11, s10
	s_addc_u32 s7, s5, s10
	s_xor_b64 s[12:13], s[6:7], s[10:11]
	v_cvt_f32_u32_e32 v3, s12
	v_cvt_f32_u32_e32 v8, s13
	s_sub_u32 s5, 0, s12
	s_subb_u32 s11, 0, s13
	v_mov_b32_e32 v13, v10
	v_fmamk_f32 v3, v8, 0x4f800000, v3
	v_rcp_f32_e32 v3, v3
	s_nop 0
	v_mul_f32_e32 v3, 0x5f7ffffc, v3
	v_mul_f32_e32 v8, 0x2f800000, v3
	v_trunc_f32_e32 v8, v8
	v_fmamk_f32 v3, v8, 0xcf800000, v3
	v_cvt_u32_f32_e32 v8, v8
	v_cvt_u32_f32_e32 v3, v3
	v_readfirstlane_b32 s14, v8
	v_readfirstlane_b32 s6, v3
	s_mul_i32 s7, s5, s14
	s_mul_hi_u32 s16, s5, s6
	s_mul_i32 s15, s11, s6
	s_add_i32 s7, s16, s7
	s_add_i32 s7, s7, s15
	s_mul_i32 s17, s5, s6
	s_mul_i32 s16, s6, s7
	s_mul_hi_u32 s18, s6, s17
	s_mul_hi_u32 s15, s6, s7
	s_add_u32 s16, s18, s16
	s_addc_u32 s15, 0, s15
	s_mul_hi_u32 s19, s14, s17
	s_mul_i32 s17, s14, s17
	s_add_u32 s16, s16, s17
	s_mul_hi_u32 s18, s14, s7
	s_addc_u32 s15, s15, s19
	s_addc_u32 s16, s18, 0
	s_mul_i32 s7, s14, s7
	s_add_u32 s7, s15, s7
	s_addc_u32 s15, 0, s16
	s_add_u32 s16, s6, s7
	s_cselect_b64 s[6:7], -1, 0
	s_cmp_lg_u64 s[6:7], 0
	s_addc_u32 s14, s14, s15
	s_mul_i32 s6, s5, s14
	s_mul_hi_u32 s7, s5, s16
	s_add_i32 s6, s7, s6
	s_mul_i32 s11, s11, s16
	s_add_i32 s6, s6, s11
	s_mul_i32 s5, s5, s16
	s_mul_hi_u32 s11, s14, s5
	s_mul_i32 s15, s14, s5
	s_mul_i32 s18, s16, s6
	s_mul_hi_u32 s5, s16, s5
	s_mul_hi_u32 s17, s16, s6
	s_add_u32 s5, s5, s18
	s_addc_u32 s17, 0, s17
	s_add_u32 s5, s5, s15
	s_mul_hi_u32 s7, s14, s6
	s_addc_u32 s5, s17, s11
	s_addc_u32 s7, s7, 0
	s_mul_i32 s6, s14, s6
	s_add_u32 s5, s5, s6
	s_addc_u32 s11, 0, s7
	s_add_u32 s5, s16, s5
	s_cselect_b64 s[6:7], -1, 0
	v_mov_b32_e32 v3, v2
	s_cmp_lg_u64 s[6:7], 0
	v_lshl_add_u64 v[8:9], v[0:1], 0, v[2:3]
	s_addc_u32 s11, s14, s11
	v_xor_b32_e32 v16, v8, v2
	v_xor_b32_e32 v3, v9, v2
	v_mad_u64_u32 v[8:9], s[6:7], v16, s11, 0
	v_mul_hi_u32 v12, v16, s5
	v_lshl_add_u64 v[8:9], v[12:13], 0, v[8:9]
	v_mad_u64_u32 v[14:15], s[6:7], v3, s5, 0
	v_add_co_u32_e32 v8, vcc, v8, v14
	v_mad_u64_u32 v[12:13], s[6:7], v3, s11, 0
	s_nop 0
	v_addc_co_u32_e32 v8, vcc, v9, v15, vcc
	v_mov_b32_e32 v9, v10
	s_nop 0
	v_addc_co_u32_e32 v13, vcc, 0, v13, vcc
	v_lshl_add_u64 v[8:9], v[8:9], 0, v[12:13]
	v_mul_lo_u32 v12, s13, v8
	v_mul_lo_u32 v13, s12, v9
	v_mad_u64_u32 v[10:11], s[6:7], s12, v8, 0
	v_add3_u32 v14, v11, v13, v12
	v_sub_u32_e32 v11, v3, v14
	v_mov_b32_e32 v12, s13
	v_sub_co_u32_e32 v15, vcc, v16, v10
	v_xor_b32_e32 v2, s10, v2
	s_nop 0
	v_subb_co_u32_e64 v10, s[6:7], v11, v12, vcc
	v_subrev_co_u32_e64 v11, s[6:7], s12, v15
	v_subb_co_u32_e32 v3, vcc, v3, v14, vcc
	s_nop 0
	v_subbrev_co_u32_e64 v10, s[6:7], 0, v10, s[6:7]
	v_cmp_le_u32_e64 s[6:7], s13, v10
	v_cmp_le_u32_e32 vcc, s13, v3
	s_nop 0
	v_cndmask_b32_e64 v12, 0, -1, s[6:7]
	v_cmp_le_u32_e64 s[6:7], s12, v11
	s_nop 1
	v_cndmask_b32_e64 v11, 0, -1, s[6:7]
	v_cmp_eq_u32_e64 s[6:7], s13, v10
	s_nop 1
	v_cndmask_b32_e64 v16, v12, v11, s[6:7]
	v_lshl_add_u64 v[10:11], v[8:9], 0, 2
	v_lshl_add_u64 v[12:13], v[8:9], 0, 1
	v_cmp_ne_u32_e64 s[6:7], 0, v16
	s_nop 1
	v_cndmask_b32_e64 v11, v13, v11, s[6:7]
	v_cndmask_b32_e64 v13, 0, -1, vcc
	v_cmp_le_u32_e32 vcc, s12, v15
	s_nop 1
	v_cndmask_b32_e64 v14, 0, -1, vcc
	v_cmp_eq_u32_e32 vcc, s13, v3
	s_nop 1
	v_cndmask_b32_e32 v3, v13, v14, vcc
	v_cmp_ne_u32_e32 vcc, 0, v3
	s_nop 1
	v_cndmask_b32_e32 v3, v9, v11, vcc
	v_cndmask_b32_e64 v9, v12, v10, s[6:7]
	v_cndmask_b32_e32 v8, v8, v9, vcc
	v_xor_b32_e32 v8, v8, v2
	v_xor_b32_e32 v3, v3, v2
	v_sub_co_u32_e32 v8, vcc, v8, v2
	s_nop 1
	v_subb_co_u32_e32 v9, vcc, v3, v2, vcc
.LBB57_11:
	s_or_saveexec_b64 s[6:7], s[8:9]
	s_load_dwordx16 s[8:23], s[0:1], 0x18
	s_xor_b64 exec, exec, s[6:7]
	s_cbranch_execz .LBB57_13
; %bb.12:
	v_cvt_f32_u32_e32 v2, s2
	s_sub_i32 s5, 0, s2
	v_rcp_iflag_f32_e32 v2, v2
	s_nop 0
	v_mul_f32_e32 v2, 0x4f7ffffe, v2
	v_cvt_u32_f32_e32 v2, v2
	v_mul_lo_u32 v3, s5, v2
	v_mul_hi_u32 v3, v2, v3
	v_add_u32_e32 v2, v2, v3
	v_mul_hi_u32 v2, v0, v2
	v_mul_lo_u32 v3, v2, s2
	v_sub_u32_e32 v3, v0, v3
	v_add_u32_e32 v8, 1, v2
	v_subrev_u32_e32 v9, s2, v3
	v_cmp_le_u32_e32 vcc, s2, v3
	s_nop 1
	v_cndmask_b32_e32 v3, v3, v9, vcc
	v_cndmask_b32_e32 v2, v2, v8, vcc
	v_add_u32_e32 v8, 1, v2
	v_cmp_le_u32_e32 vcc, s2, v3
	v_mov_b32_e32 v9, 0
	s_nop 0
	v_cndmask_b32_e32 v8, v2, v8, vcc
.LBB57_13:
	s_or_b64 exec, exec, s[6:7]
	s_load_dwordx8 s[36:43], s[0:1], 0xb0
	v_mad_u64_u32 v[2:3], s[6:7], v6, s34, 0
	v_mul_lo_u32 v7, v7, s34
	v_mul_lo_u32 v10, v6, s35
	s_waitcnt lgkmcnt(0)
	s_sub_u32 s6, 0, s36
	s_subb_u32 s7, 0, s37
	s_sub_u32 s34, 0, s38
	s_subb_u32 s35, 0, s39
	;; [unrolled: 2-line block ×3, first 2 shown]
	v_cmp_gt_i64_e64 s[52:53], s[6:7], 0
	s_and_b64 s[52:53], s[52:53], exec
	s_cselect_b32 s2, s7, 0
	s_cselect_b32 s5, s6, 0
	v_cmp_gt_i64_e64 s[6:7], s[36:37], 0
	s_and_b64 s[6:7], s[6:7], exec
	v_cmp_gt_i64_e64 s[6:7], s[34:35], 0
	s_cselect_b32 s53, s37, 0
	s_cselect_b32 s52, s36, 0
	s_and_b64 s[6:7], s[6:7], exec
	v_add3_u32 v3, v3, v10, v7
	v_sub_co_u32_e32 v0, vcc, v0, v2
	v_cmp_gt_i64_e64 s[6:7], s[38:39], 0
	s_nop 0
	v_subb_co_u32_e32 v1, vcc, v1, v3, vcc
	s_cselect_b32 s33, s35, 0
	s_cselect_b32 s54, s34, 0
	s_and_b64 s[6:7], s[6:7], exec
	v_cmp_gt_i64_e64 s[6:7], s[50:51], 0
	v_mov_b32_e32 v2, s37
	v_subrev_co_u32_e32 v3, vcc, s36, v0
	s_cselect_b32 s35, s39, 0
	s_cselect_b32 s34, s38, 0
	s_and_b64 s[6:7], s[6:7], exec
	v_subb_co_u32_e32 v2, vcc, v1, v2, vcc
	v_cmp_gt_i64_e64 s[6:7], s[40:41], 0
	v_ashrrev_i32_e32 v6, 31, v2
	s_cselect_b32 s55, s51, 0
	s_cselect_b32 s56, s50, 0
	s_and_b64 s[6:7], s[6:7], exec
	v_xor_b32_e32 v7, v2, v6
	v_xor_b32_e32 v2, v3, v6
	s_cselect_b32 s7, s41, 0
	s_cselect_b32 s6, s40, 0
	v_sub_co_u32_e32 v2, vcc, v2, v6
	s_add_u32 s50, s36, s12
	s_nop 0
	v_subb_co_u32_e32 v3, vcc, v7, v6, vcc
	s_addc_u32 s51, s37, s13
	v_mov_b32_e32 v7, s51
	v_subrev_co_u32_e32 v6, vcc, s50, v0
	s_lshl_b64 s[36:37], s[36:37], 1
	s_nop 0
	v_subb_co_u32_e32 v7, vcc, v1, v7, vcc
	s_not_b64 s[50:51], s[52:53]
	v_lshl_add_u64 v[6:7], v[6:7], 0, 1
	s_add_u32 s36, s36, s50
	v_ashrrev_i32_e32 v10, 31, v7
	s_addc_u32 s37, s37, s51
	v_xor_b32_e32 v6, v6, v10
	s_add_u32 s5, s36, s5
	v_xor_b32_e32 v7, v7, v10
	v_sub_co_u32_e32 v6, vcc, v6, v10
	s_addc_u32 s2, s37, s2
	s_nop 0
	v_subb_co_u32_e32 v7, vcc, v7, v10, vcc
	s_add_u32 s5, s5, s12
	s_addc_u32 s2, s2, s13
	v_lshl_add_u64 v[6:7], v[0:1], 0, v[6:7]
	v_mov_b32_e32 v10, s2
	v_sub_co_u32_e32 v6, vcc, s5, v6
	s_add_u32 s2, s38, s10
	s_nop 0
	v_subb_co_u32_e32 v7, vcc, v10, v7, vcc
	v_lshl_add_u64 v[2:3], v[6:7], 0, v[2:3]
	v_mov_b32_e32 v6, s39
	v_subrev_co_u32_e32 v7, vcc, s38, v4
	s_addc_u32 s5, s39, s11
	s_nop 0
	v_subb_co_u32_e32 v6, vcc, v5, v6, vcc
	v_ashrrev_i32_e32 v10, 31, v6
	v_xor_b32_e32 v11, v6, v10
	v_xor_b32_e32 v6, v7, v10
	v_sub_co_u32_e32 v6, vcc, v6, v10
	s_lshl_b64 s[12:13], s[38:39], 1
	s_nop 0
	v_subb_co_u32_e32 v7, vcc, v11, v10, vcc
	v_mov_b32_e32 v11, s5
	v_subrev_co_u32_e32 v10, vcc, s2, v4
	s_not_b64 s[34:35], s[34:35]
	s_nop 0
	v_subb_co_u32_e32 v11, vcc, v5, v11, vcc
	v_lshl_add_u64 v[10:11], v[10:11], 0, 1
	s_add_u32 s2, s12, s34
	v_ashrrev_i32_e32 v12, 31, v11
	s_addc_u32 s5, s13, s35
	v_xor_b32_e32 v10, v10, v12
	s_add_u32 s2, s2, s54
	v_xor_b32_e32 v11, v11, v12
	v_sub_co_u32_e32 v10, vcc, v10, v12
	s_addc_u32 s5, s5, s33
	s_nop 0
	v_subb_co_u32_e32 v11, vcc, v11, v12, vcc
	s_add_u32 s2, s2, s10
	s_addc_u32 s5, s5, s11
	v_lshl_add_u64 v[10:11], v[4:5], 0, v[10:11]
	v_mov_b32_e32 v12, s5
	v_sub_co_u32_e32 v10, vcc, s2, v10
	s_add_u32 s2, s40, s8
	s_nop 0
	v_subb_co_u32_e32 v11, vcc, v12, v11, vcc
	v_lshl_add_u64 v[6:7], v[10:11], 0, v[6:7]
	v_mov_b32_e32 v10, s41
	v_subrev_co_u32_e32 v11, vcc, s40, v8
	s_addc_u32 s5, s41, s9
	s_nop 0
	v_subb_co_u32_e32 v10, vcc, v9, v10, vcc
	v_ashrrev_i32_e32 v12, 31, v10
	v_xor_b32_e32 v13, v10, v12
	v_xor_b32_e32 v10, v11, v12
	v_sub_co_u32_e32 v10, vcc, v10, v12
	s_lshl_b64 s[10:11], s[40:41], 1
	s_nop 0
	v_subb_co_u32_e32 v11, vcc, v13, v12, vcc
	v_mov_b32_e32 v13, s5
	v_subrev_co_u32_e32 v12, vcc, s2, v8
	s_not_b64 s[6:7], s[6:7]
	s_nop 0
	v_subb_co_u32_e32 v13, vcc, v9, v13, vcc
	v_lshl_add_u64 v[12:13], v[12:13], 0, 1
	s_add_u32 s2, s10, s6
	v_ashrrev_i32_e32 v14, 31, v13
	s_addc_u32 s5, s11, s7
	v_xor_b32_e32 v12, v12, v14
	s_add_u32 s2, s2, s56
	s_load_dwordx2 s[0:1], s[0:1], 0xd0
	v_xor_b32_e32 v13, v13, v14
	v_sub_co_u32_e32 v12, vcc, v12, v14
	s_addc_u32 s5, s5, s55
	s_nop 0
	v_subb_co_u32_e32 v13, vcc, v13, v14, vcc
	s_add_u32 s2, s2, s8
	s_addc_u32 s5, s5, s9
	v_lshl_add_u64 v[12:13], v[8:9], 0, v[12:13]
	v_sub_co_u32_e32 v12, vcc, s2, v12
	s_add_u32 s2, s42, s3
	s_addc_u32 s3, s43, 0
	s_waitcnt lgkmcnt(0)
	s_add_u32 s4, s0, s4
	v_mov_b32_e32 v14, s5
	s_addc_u32 s5, s1, 0
	s_mul_i32 s0, s14, s5
	s_mul_hi_u32 s1, s14, s4
	s_add_i32 s0, s1, s0
	s_mul_i32 s1, s15, s4
	s_add_i32 s0, s0, s1
	s_mul_i32 s1, s14, s4
	s_add_u32 s1, s48, s1
	s_addc_u32 s6, s49, s0
	s_mul_i32 s0, s16, s3
	s_mul_hi_u32 s7, s16, s2
	s_add_i32 s0, s7, s0
	s_mul_i32 s7, s17, s2
	s_add_i32 s7, s0, s7
	s_mul_i32 s0, s16, s2
	s_add_u32 s0, s1, s0
	v_subb_co_u32_e32 v13, vcc, v14, v13, vcc
	s_addc_u32 s1, s6, s7
	v_lshl_add_u64 v[10:11], v[12:13], 0, v[10:11]
	v_mov_b64_e32 v[12:13], s[0:1]
	v_mul_lo_u32 v14, v10, s19
	v_mul_lo_u32 v15, v11, s18
	v_mad_u64_u32 v[10:11], s[0:1], v10, s18, v[12:13]
	v_add3_u32 v11, v15, v11, v14
	v_mad_u64_u32 v[10:11], s[0:1], v6, s20, v[10:11]
	v_mul_lo_u32 v6, v6, s21
	v_mul_lo_u32 v7, v7, s20
	v_add3_u32 v11, v7, v11, v6
	v_mad_u64_u32 v[6:7], s[0:1], v2, s22, v[10:11]
	v_mul_lo_u32 v2, v2, s23
	v_mul_lo_u32 v3, v3, s22
	v_add3_u32 v7, v3, v7, v2
	global_load_ubyte v6, v[6:7], off
	s_mul_i32 s0, s24, s5
	s_mul_hi_u32 s1, s24, s4
	s_add_i32 s0, s1, s0
	s_mul_i32 s1, s25, s4
	s_add_i32 s0, s0, s1
	s_mul_i32 s1, s24, s4
	s_add_u32 s1, s46, s1
	s_addc_u32 s4, s47, s0
	s_mul_i32 s0, s26, s3
	s_mul_hi_u32 s3, s26, s2
	s_add_i32 s0, s3, s0
	s_mul_i32 s3, s27, s2
	s_add_i32 s3, s0, s3
	s_mul_i32 s0, s26, s2
	s_add_u32 s0, s1, s0
	s_addc_u32 s1, s4, s3
	v_mov_b64_e32 v[2:3], s[0:1]
	v_mad_u64_u32 v[2:3], s[0:1], v8, s28, v[2:3]
	v_mul_lo_u32 v7, v8, s29
	v_mul_lo_u32 v8, v9, s28
	v_add3_u32 v3, v8, v3, v7
	v_mad_u64_u32 v[2:3], s[0:1], v4, s30, v[2:3]
	v_mul_lo_u32 v4, v4, s31
	v_mul_lo_u32 v5, v5, s30
	v_add3_u32 v3, v5, v3, v4
	;; [unrolled: 4-line block ×3, first 2 shown]
	s_waitcnt vmcnt(0)
	global_store_byte v[2:3], v6, off
.LBB57_14:
	s_endpgm
	.section	.rodata,"a",@progbits
	.p2align	6, 0x0
	.amdhsa_kernel _ZN2at6native12_GLOBAL__N_127reflection_pad3d_out_kernelIhEEvN5torch10headeronly6detail27GenericPackedTensorAccessorINS5_14TensorAccessorIN3c108ArrayRefIlEEKT_Lm4ENS4_16DefaultPtrTraitsElEENS_6detail16IndexBoundsCheckILm5ElEESC_Lm5ESD_lEENS6_INS7_ISA_SB_Lm4ESD_lEESH_SB_Lm5ESD_lEElllll
		.amdhsa_group_segment_fixed_size 0
		.amdhsa_private_segment_fixed_size 0
		.amdhsa_kernarg_size 472
		.amdhsa_user_sgpr_count 2
		.amdhsa_user_sgpr_dispatch_ptr 0
		.amdhsa_user_sgpr_queue_ptr 0
		.amdhsa_user_sgpr_kernarg_segment_ptr 1
		.amdhsa_user_sgpr_dispatch_id 0
		.amdhsa_user_sgpr_kernarg_preload_length 0
		.amdhsa_user_sgpr_kernarg_preload_offset 0
		.amdhsa_user_sgpr_private_segment_size 0
		.amdhsa_uses_dynamic_stack 0
		.amdhsa_enable_private_segment 0
		.amdhsa_system_sgpr_workgroup_id_x 1
		.amdhsa_system_sgpr_workgroup_id_y 1
		.amdhsa_system_sgpr_workgroup_id_z 1
		.amdhsa_system_sgpr_workgroup_info 0
		.amdhsa_system_vgpr_workitem_id 0
		.amdhsa_next_free_vgpr 17
		.amdhsa_next_free_sgpr 57
		.amdhsa_accum_offset 20
		.amdhsa_reserve_vcc 1
		.amdhsa_float_round_mode_32 0
		.amdhsa_float_round_mode_16_64 0
		.amdhsa_float_denorm_mode_32 3
		.amdhsa_float_denorm_mode_16_64 3
		.amdhsa_dx10_clamp 1
		.amdhsa_ieee_mode 1
		.amdhsa_fp16_overflow 0
		.amdhsa_tg_split 0
		.amdhsa_exception_fp_ieee_invalid_op 0
		.amdhsa_exception_fp_denorm_src 0
		.amdhsa_exception_fp_ieee_div_zero 0
		.amdhsa_exception_fp_ieee_overflow 0
		.amdhsa_exception_fp_ieee_underflow 0
		.amdhsa_exception_fp_ieee_inexact 0
		.amdhsa_exception_int_div_zero 0
	.end_amdhsa_kernel
	.section	.text._ZN2at6native12_GLOBAL__N_127reflection_pad3d_out_kernelIhEEvN5torch10headeronly6detail27GenericPackedTensorAccessorINS5_14TensorAccessorIN3c108ArrayRefIlEEKT_Lm4ENS4_16DefaultPtrTraitsElEENS_6detail16IndexBoundsCheckILm5ElEESC_Lm5ESD_lEENS6_INS7_ISA_SB_Lm4ESD_lEESH_SB_Lm5ESD_lEElllll,"axG",@progbits,_ZN2at6native12_GLOBAL__N_127reflection_pad3d_out_kernelIhEEvN5torch10headeronly6detail27GenericPackedTensorAccessorINS5_14TensorAccessorIN3c108ArrayRefIlEEKT_Lm4ENS4_16DefaultPtrTraitsElEENS_6detail16IndexBoundsCheckILm5ElEESC_Lm5ESD_lEENS6_INS7_ISA_SB_Lm4ESD_lEESH_SB_Lm5ESD_lEElllll,comdat
.Lfunc_end57:
	.size	_ZN2at6native12_GLOBAL__N_127reflection_pad3d_out_kernelIhEEvN5torch10headeronly6detail27GenericPackedTensorAccessorINS5_14TensorAccessorIN3c108ArrayRefIlEEKT_Lm4ENS4_16DefaultPtrTraitsElEENS_6detail16IndexBoundsCheckILm5ElEESC_Lm5ESD_lEENS6_INS7_ISA_SB_Lm4ESD_lEESH_SB_Lm5ESD_lEElllll, .Lfunc_end57-_ZN2at6native12_GLOBAL__N_127reflection_pad3d_out_kernelIhEEvN5torch10headeronly6detail27GenericPackedTensorAccessorINS5_14TensorAccessorIN3c108ArrayRefIlEEKT_Lm4ENS4_16DefaultPtrTraitsElEENS_6detail16IndexBoundsCheckILm5ElEESC_Lm5ESD_lEENS6_INS7_ISA_SB_Lm4ESD_lEESH_SB_Lm5ESD_lEElllll
                                        ; -- End function
	.set _ZN2at6native12_GLOBAL__N_127reflection_pad3d_out_kernelIhEEvN5torch10headeronly6detail27GenericPackedTensorAccessorINS5_14TensorAccessorIN3c108ArrayRefIlEEKT_Lm4ENS4_16DefaultPtrTraitsElEENS_6detail16IndexBoundsCheckILm5ElEESC_Lm5ESD_lEENS6_INS7_ISA_SB_Lm4ESD_lEESH_SB_Lm5ESD_lEElllll.num_vgpr, 17
	.set _ZN2at6native12_GLOBAL__N_127reflection_pad3d_out_kernelIhEEvN5torch10headeronly6detail27GenericPackedTensorAccessorINS5_14TensorAccessorIN3c108ArrayRefIlEEKT_Lm4ENS4_16DefaultPtrTraitsElEENS_6detail16IndexBoundsCheckILm5ElEESC_Lm5ESD_lEENS6_INS7_ISA_SB_Lm4ESD_lEESH_SB_Lm5ESD_lEElllll.num_agpr, 0
	.set _ZN2at6native12_GLOBAL__N_127reflection_pad3d_out_kernelIhEEvN5torch10headeronly6detail27GenericPackedTensorAccessorINS5_14TensorAccessorIN3c108ArrayRefIlEEKT_Lm4ENS4_16DefaultPtrTraitsElEENS_6detail16IndexBoundsCheckILm5ElEESC_Lm5ESD_lEENS6_INS7_ISA_SB_Lm4ESD_lEESH_SB_Lm5ESD_lEElllll.numbered_sgpr, 57
	.set _ZN2at6native12_GLOBAL__N_127reflection_pad3d_out_kernelIhEEvN5torch10headeronly6detail27GenericPackedTensorAccessorINS5_14TensorAccessorIN3c108ArrayRefIlEEKT_Lm4ENS4_16DefaultPtrTraitsElEENS_6detail16IndexBoundsCheckILm5ElEESC_Lm5ESD_lEENS6_INS7_ISA_SB_Lm4ESD_lEESH_SB_Lm5ESD_lEElllll.num_named_barrier, 0
	.set _ZN2at6native12_GLOBAL__N_127reflection_pad3d_out_kernelIhEEvN5torch10headeronly6detail27GenericPackedTensorAccessorINS5_14TensorAccessorIN3c108ArrayRefIlEEKT_Lm4ENS4_16DefaultPtrTraitsElEENS_6detail16IndexBoundsCheckILm5ElEESC_Lm5ESD_lEENS6_INS7_ISA_SB_Lm4ESD_lEESH_SB_Lm5ESD_lEElllll.private_seg_size, 0
	.set _ZN2at6native12_GLOBAL__N_127reflection_pad3d_out_kernelIhEEvN5torch10headeronly6detail27GenericPackedTensorAccessorINS5_14TensorAccessorIN3c108ArrayRefIlEEKT_Lm4ENS4_16DefaultPtrTraitsElEENS_6detail16IndexBoundsCheckILm5ElEESC_Lm5ESD_lEENS6_INS7_ISA_SB_Lm4ESD_lEESH_SB_Lm5ESD_lEElllll.uses_vcc, 1
	.set _ZN2at6native12_GLOBAL__N_127reflection_pad3d_out_kernelIhEEvN5torch10headeronly6detail27GenericPackedTensorAccessorINS5_14TensorAccessorIN3c108ArrayRefIlEEKT_Lm4ENS4_16DefaultPtrTraitsElEENS_6detail16IndexBoundsCheckILm5ElEESC_Lm5ESD_lEENS6_INS7_ISA_SB_Lm4ESD_lEESH_SB_Lm5ESD_lEElllll.uses_flat_scratch, 0
	.set _ZN2at6native12_GLOBAL__N_127reflection_pad3d_out_kernelIhEEvN5torch10headeronly6detail27GenericPackedTensorAccessorINS5_14TensorAccessorIN3c108ArrayRefIlEEKT_Lm4ENS4_16DefaultPtrTraitsElEENS_6detail16IndexBoundsCheckILm5ElEESC_Lm5ESD_lEENS6_INS7_ISA_SB_Lm4ESD_lEESH_SB_Lm5ESD_lEElllll.has_dyn_sized_stack, 0
	.set _ZN2at6native12_GLOBAL__N_127reflection_pad3d_out_kernelIhEEvN5torch10headeronly6detail27GenericPackedTensorAccessorINS5_14TensorAccessorIN3c108ArrayRefIlEEKT_Lm4ENS4_16DefaultPtrTraitsElEENS_6detail16IndexBoundsCheckILm5ElEESC_Lm5ESD_lEENS6_INS7_ISA_SB_Lm4ESD_lEESH_SB_Lm5ESD_lEElllll.has_recursion, 0
	.set _ZN2at6native12_GLOBAL__N_127reflection_pad3d_out_kernelIhEEvN5torch10headeronly6detail27GenericPackedTensorAccessorINS5_14TensorAccessorIN3c108ArrayRefIlEEKT_Lm4ENS4_16DefaultPtrTraitsElEENS_6detail16IndexBoundsCheckILm5ElEESC_Lm5ESD_lEENS6_INS7_ISA_SB_Lm4ESD_lEESH_SB_Lm5ESD_lEElllll.has_indirect_call, 0
	.section	.AMDGPU.csdata,"",@progbits
; Kernel info:
; codeLenInByte = 3596
; TotalNumSgprs: 63
; NumVgprs: 17
; NumAgprs: 0
; TotalNumVgprs: 17
; ScratchSize: 0
; MemoryBound: 0
; FloatMode: 240
; IeeeMode: 1
; LDSByteSize: 0 bytes/workgroup (compile time only)
; SGPRBlocks: 7
; VGPRBlocks: 2
; NumSGPRsForWavesPerEU: 63
; NumVGPRsForWavesPerEU: 17
; AccumOffset: 20
; Occupancy: 8
; WaveLimiterHint : 0
; COMPUTE_PGM_RSRC2:SCRATCH_EN: 0
; COMPUTE_PGM_RSRC2:USER_SGPR: 2
; COMPUTE_PGM_RSRC2:TRAP_HANDLER: 0
; COMPUTE_PGM_RSRC2:TGID_X_EN: 1
; COMPUTE_PGM_RSRC2:TGID_Y_EN: 1
; COMPUTE_PGM_RSRC2:TGID_Z_EN: 1
; COMPUTE_PGM_RSRC2:TIDIG_COMP_CNT: 0
; COMPUTE_PGM_RSRC3_GFX90A:ACCUM_OFFSET: 4
; COMPUTE_PGM_RSRC3_GFX90A:TG_SPLIT: 0
	.section	.text._ZN2at6native12_GLOBAL__N_127reflection_pad3d_out_kernelIaEEvN5torch10headeronly6detail27GenericPackedTensorAccessorINS5_14TensorAccessorIN3c108ArrayRefIlEEKT_Lm4ENS4_16DefaultPtrTraitsElEENS_6detail16IndexBoundsCheckILm5ElEESC_Lm5ESD_lEENS6_INS7_ISA_SB_Lm4ESD_lEESH_SB_Lm5ESD_lEElllll,"axG",@progbits,_ZN2at6native12_GLOBAL__N_127reflection_pad3d_out_kernelIaEEvN5torch10headeronly6detail27GenericPackedTensorAccessorINS5_14TensorAccessorIN3c108ArrayRefIlEEKT_Lm4ENS4_16DefaultPtrTraitsElEENS_6detail16IndexBoundsCheckILm5ElEESC_Lm5ESD_lEENS6_INS7_ISA_SB_Lm4ESD_lEESH_SB_Lm5ESD_lEElllll,comdat
	.globl	_ZN2at6native12_GLOBAL__N_127reflection_pad3d_out_kernelIaEEvN5torch10headeronly6detail27GenericPackedTensorAccessorINS5_14TensorAccessorIN3c108ArrayRefIlEEKT_Lm4ENS4_16DefaultPtrTraitsElEENS_6detail16IndexBoundsCheckILm5ElEESC_Lm5ESD_lEENS6_INS7_ISA_SB_Lm4ESD_lEESH_SB_Lm5ESD_lEElllll ; -- Begin function _ZN2at6native12_GLOBAL__N_127reflection_pad3d_out_kernelIaEEvN5torch10headeronly6detail27GenericPackedTensorAccessorINS5_14TensorAccessorIN3c108ArrayRefIlEEKT_Lm4ENS4_16DefaultPtrTraitsElEENS_6detail16IndexBoundsCheckILm5ElEESC_Lm5ESD_lEENS6_INS7_ISA_SB_Lm4ESD_lEESH_SB_Lm5ESD_lEElllll
	.p2align	8
	.type	_ZN2at6native12_GLOBAL__N_127reflection_pad3d_out_kernelIaEEvN5torch10headeronly6detail27GenericPackedTensorAccessorINS5_14TensorAccessorIN3c108ArrayRefIlEEKT_Lm4ENS4_16DefaultPtrTraitsElEENS_6detail16IndexBoundsCheckILm5ElEESC_Lm5ESD_lEENS6_INS7_ISA_SB_Lm4ESD_lEESH_SB_Lm5ESD_lEElllll,@function
_ZN2at6native12_GLOBAL__N_127reflection_pad3d_out_kernelIaEEvN5torch10headeronly6detail27GenericPackedTensorAccessorINS5_14TensorAccessorIN3c108ArrayRefIlEEKT_Lm4ENS4_16DefaultPtrTraitsElEENS_6detail16IndexBoundsCheckILm5ElEESC_Lm5ESD_lEENS6_INS7_ISA_SB_Lm4ESD_lEESH_SB_Lm5ESD_lEElllll: ; @_ZN2at6native12_GLOBAL__N_127reflection_pad3d_out_kernelIaEEvN5torch10headeronly6detail27GenericPackedTensorAccessorINS5_14TensorAccessorIN3c108ArrayRefIlEEKT_Lm4ENS4_16DefaultPtrTraitsElEENS_6detail16IndexBoundsCheckILm5ElEESC_Lm5ESD_lEENS6_INS7_ISA_SB_Lm4ESD_lEESH_SB_Lm5ESD_lEElllll
; %bb.0:
	s_load_dword s5, s[0:1], 0xe4
	s_load_dwordx4 s[8:11], s[0:1], 0x70
	s_load_dwordx2 s[34:35], s[0:1], 0x80
	v_mov_b32_e32 v2, 0
	v_mov_b32_e32 v1, v2
	s_waitcnt lgkmcnt(0)
	s_and_b32 s5, s5, 0xffff
	v_mov_b32_e32 v3, s2
	v_mad_u64_u32 v[0:1], s[6:7], s5, v3, v[0:1]
	s_mul_i32 s2, s34, s11
	s_mul_hi_u32 s5, s34, s10
	s_add_i32 s5, s5, s2
	s_mul_i32 s2, s35, s10
	s_add_i32 s5, s5, s2
	s_mul_i32 s2, s34, s10
	s_mul_i32 s6, s2, s9
	s_mul_hi_u32 s7, s2, s8
	s_add_i32 s6, s7, s6
	s_mul_i32 s7, s5, s8
	s_add_i32 s7, s6, s7
	s_mul_i32 s6, s2, s8
	v_cmp_gt_i64_e32 vcc, s[6:7], v[0:1]
	s_and_saveexec_b64 s[6:7], vcc
	s_cbranch_execz .LBB58_14
; %bb.1:
	v_or_b32_e32 v3, s35, v1
	v_cmp_ne_u64_e32 vcc, 0, v[2:3]
	v_ashrrev_i32_e32 v2, 31, v1
                                        ; implicit-def: $vgpr6_vgpr7
	s_and_saveexec_b64 s[6:7], vcc
	s_xor_b64 s[8:9], exec, s[6:7]
	s_cbranch_execz .LBB58_3
; %bb.2:
	s_ashr_i32 s12, s35, 31
	s_add_u32 s6, s34, s12
	s_mov_b32 s13, s12
	s_addc_u32 s7, s35, s12
	s_xor_b64 s[14:15], s[6:7], s[12:13]
	v_cvt_f32_u32_e32 v3, s14
	v_cvt_f32_u32_e32 v4, s15
	s_sub_u32 s13, 0, s14
	s_subb_u32 s16, 0, s15
	v_mov_b32_e32 v7, 0
	v_fmamk_f32 v3, v4, 0x4f800000, v3
	v_rcp_f32_e32 v3, v3
	s_nop 0
	v_mul_f32_e32 v3, 0x5f7ffffc, v3
	v_mul_f32_e32 v4, 0x2f800000, v3
	v_trunc_f32_e32 v4, v4
	v_fmamk_f32 v3, v4, 0xcf800000, v3
	v_cvt_u32_f32_e32 v4, v4
	v_cvt_u32_f32_e32 v3, v3
	v_readfirstlane_b32 s17, v4
	v_readfirstlane_b32 s6, v3
	s_mul_i32 s7, s13, s17
	s_mul_hi_u32 s19, s13, s6
	s_mul_i32 s18, s16, s6
	s_add_i32 s7, s19, s7
	s_add_i32 s7, s7, s18
	s_mul_i32 s20, s13, s6
	s_mul_i32 s19, s6, s7
	s_mul_hi_u32 s21, s6, s20
	s_mul_hi_u32 s18, s6, s7
	s_add_u32 s19, s21, s19
	s_addc_u32 s18, 0, s18
	s_mul_hi_u32 s22, s17, s20
	s_mul_i32 s20, s17, s20
	s_add_u32 s19, s19, s20
	s_mul_hi_u32 s21, s17, s7
	s_addc_u32 s18, s18, s22
	s_addc_u32 s19, s21, 0
	s_mul_i32 s7, s17, s7
	s_add_u32 s7, s18, s7
	s_addc_u32 s18, 0, s19
	s_add_u32 s19, s6, s7
	s_cselect_b64 s[6:7], -1, 0
	s_cmp_lg_u64 s[6:7], 0
	s_addc_u32 s17, s17, s18
	s_mul_i32 s6, s13, s17
	s_mul_hi_u32 s7, s13, s19
	s_add_i32 s6, s7, s6
	s_mul_i32 s16, s16, s19
	s_add_i32 s6, s6, s16
	s_mul_i32 s13, s13, s19
	s_mul_hi_u32 s16, s17, s13
	s_mul_i32 s18, s17, s13
	s_mul_i32 s21, s19, s6
	s_mul_hi_u32 s13, s19, s13
	s_mul_hi_u32 s20, s19, s6
	s_add_u32 s13, s13, s21
	s_addc_u32 s20, 0, s20
	s_add_u32 s13, s13, s18
	s_mul_hi_u32 s7, s17, s6
	s_addc_u32 s13, s20, s16
	s_addc_u32 s7, s7, 0
	s_mul_i32 s6, s17, s6
	s_add_u32 s6, s13, s6
	s_addc_u32 s13, 0, s7
	s_add_u32 s16, s19, s6
	s_cselect_b64 s[6:7], -1, 0
	v_mov_b32_e32 v3, v2
	s_cmp_lg_u64 s[6:7], 0
	v_lshl_add_u64 v[4:5], v[0:1], 0, v[2:3]
	s_addc_u32 s13, s17, s13
	v_xor_b32_e32 v12, v4, v2
	v_xor_b32_e32 v3, v5, v2
	v_mad_u64_u32 v[4:5], s[6:7], v12, s13, 0
	v_mul_hi_u32 v6, v12, s16
	v_lshl_add_u64 v[4:5], v[6:7], 0, v[4:5]
	v_mad_u64_u32 v[10:11], s[6:7], v3, s16, 0
	v_add_co_u32_e32 v4, vcc, v4, v10
	v_mad_u64_u32 v[8:9], s[6:7], v3, s13, 0
	s_nop 0
	v_addc_co_u32_e32 v6, vcc, v5, v11, vcc
	s_nop 1
	v_addc_co_u32_e32 v9, vcc, 0, v9, vcc
	v_lshl_add_u64 v[4:5], v[6:7], 0, v[8:9]
	v_mul_lo_u32 v8, s15, v4
	v_mul_lo_u32 v9, s14, v5
	v_mad_u64_u32 v[6:7], s[6:7], s14, v4, 0
	v_add3_u32 v10, v7, v9, v8
	v_sub_u32_e32 v7, v3, v10
	v_mov_b32_e32 v8, s15
	v_sub_co_u32_e32 v11, vcc, v12, v6
	s_nop 1
	v_subb_co_u32_e64 v6, s[6:7], v7, v8, vcc
	v_subrev_co_u32_e64 v7, s[6:7], s14, v11
	v_subb_co_u32_e32 v3, vcc, v3, v10, vcc
	s_nop 0
	v_subbrev_co_u32_e64 v6, s[6:7], 0, v6, s[6:7]
	v_cmp_le_u32_e64 s[6:7], s15, v6
	v_cmp_le_u32_e32 vcc, s15, v3
	s_nop 0
	v_cndmask_b32_e64 v8, 0, -1, s[6:7]
	v_cmp_le_u32_e64 s[6:7], s14, v7
	s_nop 1
	v_cndmask_b32_e64 v7, 0, -1, s[6:7]
	v_cmp_eq_u32_e64 s[6:7], s15, v6
	s_nop 1
	v_cndmask_b32_e64 v12, v8, v7, s[6:7]
	v_lshl_add_u64 v[6:7], v[4:5], 0, 2
	v_lshl_add_u64 v[8:9], v[4:5], 0, 1
	v_cmp_ne_u32_e64 s[6:7], 0, v12
	s_nop 1
	v_cndmask_b32_e64 v7, v9, v7, s[6:7]
	v_cndmask_b32_e64 v9, 0, -1, vcc
	v_cmp_le_u32_e32 vcc, s14, v11
	s_nop 1
	v_cndmask_b32_e64 v10, 0, -1, vcc
	v_cmp_eq_u32_e32 vcc, s15, v3
	s_nop 1
	v_cndmask_b32_e32 v3, v9, v10, vcc
	v_cmp_ne_u32_e32 vcc, 0, v3
	s_nop 1
	v_cndmask_b32_e32 v3, v5, v7, vcc
	v_cndmask_b32_e64 v5, v8, v6, s[6:7]
	v_cndmask_b32_e32 v4, v4, v5, vcc
	v_xor_b32_e32 v5, s12, v2
	v_xor_b32_e32 v4, v4, v5
	;; [unrolled: 1-line block ×3, first 2 shown]
	v_sub_co_u32_e32 v6, vcc, v4, v5
	s_nop 1
	v_subb_co_u32_e32 v7, vcc, v3, v5, vcc
.LBB58_3:
	s_andn2_saveexec_b64 s[6:7], s[8:9]
	s_cbranch_execz .LBB58_5
; %bb.4:
	v_cvt_f32_u32_e32 v3, s34
	s_sub_i32 s8, 0, s34
	v_mov_b32_e32 v7, 0
	v_rcp_iflag_f32_e32 v3, v3
	s_nop 0
	v_mul_f32_e32 v3, 0x4f7ffffe, v3
	v_cvt_u32_f32_e32 v3, v3
	v_mul_lo_u32 v4, s8, v3
	v_mul_hi_u32 v4, v3, v4
	v_add_u32_e32 v3, v3, v4
	v_mul_hi_u32 v3, v0, v3
	v_mul_lo_u32 v4, v3, s34
	v_sub_u32_e32 v4, v0, v4
	v_add_u32_e32 v5, 1, v3
	v_subrev_u32_e32 v6, s34, v4
	v_cmp_le_u32_e32 vcc, s34, v4
	s_nop 1
	v_cndmask_b32_e32 v4, v4, v6, vcc
	v_cndmask_b32_e32 v3, v3, v5, vcc
	v_add_u32_e32 v5, 1, v3
	v_cmp_le_u32_e32 vcc, s34, v4
	s_nop 1
	v_cndmask_b32_e32 v6, v3, v5, vcc
.LBB58_5:
	s_or_b64 exec, exec, s[6:7]
	v_or_b32_e32 v9, s11, v7
	v_mov_b32_e32 v8, 0
	v_cmp_ne_u64_e32 vcc, 0, v[8:9]
                                        ; implicit-def: $vgpr4_vgpr5
	s_and_saveexec_b64 s[6:7], vcc
	s_xor_b64 s[12:13], exec, s[6:7]
	s_cbranch_execz .LBB58_7
; %bb.6:
	s_ashr_i32 s6, s11, 31
	s_add_u32 s8, s10, s6
	s_mov_b32 s7, s6
	s_addc_u32 s9, s11, s6
	s_xor_b64 s[14:15], s[8:9], s[6:7]
	v_cvt_f32_u32_e32 v3, s14
	v_cvt_f32_u32_e32 v4, s15
	s_sub_u32 s8, 0, s14
	s_subb_u32 s9, 0, s15
	v_ashrrev_i32_e32 v10, 31, v7
	v_fmamk_f32 v3, v4, 0x4f800000, v3
	v_rcp_f32_e32 v3, v3
	v_mov_b32_e32 v11, v10
	v_mov_b32_e32 v13, v8
	v_mul_f32_e32 v3, 0x5f7ffffc, v3
	v_mul_f32_e32 v4, 0x2f800000, v3
	v_trunc_f32_e32 v4, v4
	v_fmamk_f32 v3, v4, 0xcf800000, v3
	v_cvt_u32_f32_e32 v4, v4
	v_cvt_u32_f32_e32 v3, v3
	v_readfirstlane_b32 s11, v4
	v_readfirstlane_b32 s6, v3
	s_mul_i32 s7, s8, s11
	s_mul_hi_u32 s17, s8, s6
	s_mul_i32 s16, s9, s6
	s_add_i32 s7, s17, s7
	s_add_i32 s7, s7, s16
	s_mul_i32 s18, s8, s6
	s_mul_i32 s17, s6, s7
	s_mul_hi_u32 s19, s6, s18
	s_mul_hi_u32 s16, s6, s7
	s_add_u32 s17, s19, s17
	s_addc_u32 s16, 0, s16
	s_mul_hi_u32 s20, s11, s18
	s_mul_i32 s18, s11, s18
	s_add_u32 s17, s17, s18
	s_mul_hi_u32 s19, s11, s7
	s_addc_u32 s16, s16, s20
	s_addc_u32 s17, s19, 0
	s_mul_i32 s7, s11, s7
	s_add_u32 s7, s16, s7
	s_addc_u32 s16, 0, s17
	s_add_u32 s17, s6, s7
	s_cselect_b64 s[6:7], -1, 0
	s_cmp_lg_u64 s[6:7], 0
	s_addc_u32 s11, s11, s16
	s_mul_i32 s6, s8, s11
	s_mul_hi_u32 s7, s8, s17
	s_add_i32 s6, s7, s6
	s_mul_i32 s9, s9, s17
	s_add_i32 s6, s6, s9
	s_mul_i32 s8, s8, s17
	s_mul_hi_u32 s9, s11, s8
	s_mul_i32 s16, s11, s8
	s_mul_i32 s19, s17, s6
	s_mul_hi_u32 s8, s17, s8
	s_mul_hi_u32 s18, s17, s6
	s_add_u32 s8, s8, s19
	s_addc_u32 s18, 0, s18
	s_add_u32 s8, s8, s16
	s_mul_hi_u32 s7, s11, s6
	s_addc_u32 s8, s18, s9
	s_addc_u32 s7, s7, 0
	s_mul_i32 s6, s11, s6
	s_add_u32 s6, s8, s6
	s_addc_u32 s8, 0, s7
	s_add_u32 s9, s17, s6
	s_cselect_b64 s[6:7], -1, 0
	s_cmp_lg_u64 s[6:7], 0
	v_lshl_add_u64 v[4:5], v[6:7], 0, v[10:11]
	s_addc_u32 s8, s11, s8
	v_xor_b32_e32 v9, v4, v10
	v_xor_b32_e32 v3, v5, v10
	v_mad_u64_u32 v[4:5], s[6:7], v9, s8, 0
	v_mul_hi_u32 v12, v9, s9
	v_lshl_add_u64 v[4:5], v[12:13], 0, v[4:5]
	v_mad_u64_u32 v[14:15], s[6:7], v3, s9, 0
	v_add_co_u32_e32 v4, vcc, v4, v14
	v_mad_u64_u32 v[12:13], s[6:7], v3, s8, 0
	s_nop 0
	v_addc_co_u32_e32 v4, vcc, v5, v15, vcc
	v_mov_b32_e32 v5, v8
	s_nop 0
	v_addc_co_u32_e32 v13, vcc, 0, v13, vcc
	v_lshl_add_u64 v[4:5], v[4:5], 0, v[12:13]
	v_mul_lo_u32 v8, s15, v4
	v_mul_lo_u32 v11, s14, v5
	v_mad_u64_u32 v[4:5], s[6:7], s14, v4, 0
	v_add3_u32 v5, v5, v11, v8
	v_sub_u32_e32 v8, v3, v5
	v_mov_b32_e32 v11, s15
	v_sub_co_u32_e32 v4, vcc, v9, v4
	s_nop 1
	v_subb_co_u32_e64 v8, s[6:7], v8, v11, vcc
	v_subrev_co_u32_e64 v9, s[6:7], s14, v4
	v_subb_co_u32_e32 v3, vcc, v3, v5, vcc
	s_nop 0
	v_subbrev_co_u32_e64 v12, s[8:9], 0, v8, s[6:7]
	v_cmp_le_u32_e64 s[8:9], s15, v12
	v_subb_co_u32_e64 v8, s[6:7], v8, v11, s[6:7]
	s_nop 0
	v_cndmask_b32_e64 v13, 0, -1, s[8:9]
	v_cmp_le_u32_e64 s[8:9], s14, v9
	v_subrev_co_u32_e64 v11, s[6:7], s14, v9
	s_nop 0
	v_cndmask_b32_e64 v14, 0, -1, s[8:9]
	v_cmp_eq_u32_e64 s[8:9], s15, v12
	v_subbrev_co_u32_e64 v8, s[6:7], 0, v8, s[6:7]
	s_nop 0
	v_cndmask_b32_e64 v13, v13, v14, s[8:9]
	v_cmp_le_u32_e32 vcc, s15, v3
	v_cmp_ne_u32_e64 s[6:7], 0, v13
	s_nop 0
	v_cndmask_b32_e64 v5, 0, -1, vcc
	v_cmp_le_u32_e32 vcc, s14, v4
	v_cndmask_b32_e64 v8, v12, v8, s[6:7]
	s_nop 0
	v_cndmask_b32_e64 v12, 0, -1, vcc
	v_cmp_eq_u32_e32 vcc, s15, v3
	s_nop 1
	v_cndmask_b32_e32 v5, v5, v12, vcc
	v_cmp_ne_u32_e32 vcc, 0, v5
	v_cndmask_b32_e64 v5, v9, v11, s[6:7]
	s_nop 0
	v_cndmask_b32_e32 v4, v4, v5, vcc
	v_cndmask_b32_e32 v3, v3, v8, vcc
	v_xor_b32_e32 v4, v4, v10
	v_xor_b32_e32 v3, v3, v10
	v_sub_co_u32_e32 v4, vcc, v4, v10
	s_nop 1
	v_subb_co_u32_e32 v5, vcc, v3, v10, vcc
.LBB58_7:
	s_or_saveexec_b64 s[6:7], s[12:13]
	s_load_dwordx2 s[44:45], s[0:1], 0xa8
	s_load_dwordx8 s[24:31], s[0:1], 0x88
	s_xor_b64 exec, exec, s[6:7]
	s_cbranch_execz .LBB58_9
; %bb.8:
	v_cvt_f32_u32_e32 v3, s10
	s_sub_i32 s8, 0, s10
	v_mov_b32_e32 v5, 0
	v_rcp_iflag_f32_e32 v3, v3
	s_nop 0
	v_mul_f32_e32 v3, 0x4f7ffffe, v3
	v_cvt_u32_f32_e32 v3, v3
	v_mul_lo_u32 v4, s8, v3
	v_mul_hi_u32 v4, v3, v4
	v_add_u32_e32 v3, v3, v4
	v_mul_hi_u32 v3, v6, v3
	v_mul_lo_u32 v3, v3, s10
	v_sub_u32_e32 v3, v6, v3
	v_subrev_u32_e32 v4, s10, v3
	v_cmp_le_u32_e32 vcc, s10, v3
	s_nop 1
	v_cndmask_b32_e32 v3, v3, v4, vcc
	v_subrev_u32_e32 v4, s10, v3
	v_cmp_le_u32_e32 vcc, s10, v3
	s_nop 1
	v_cndmask_b32_e32 v4, v3, v4, vcc
.LBB58_9:
	s_or_b64 exec, exec, s[6:7]
	s_load_dwordx2 s[46:47], s[0:1], 0x58
	s_load_dwordx2 s[48:49], s[0:1], 0x0
	v_or_b32_e32 v11, s5, v1
	v_mov_b32_e32 v10, 0
	v_cmp_ne_u64_e32 vcc, 0, v[10:11]
                                        ; implicit-def: $vgpr8_vgpr9
	s_and_saveexec_b64 s[6:7], vcc
	s_xor_b64 s[8:9], exec, s[6:7]
	s_cbranch_execz .LBB58_11
; %bb.10:
	s_ashr_i32 s10, s5, 31
	s_add_u32 s6, s2, s10
	s_mov_b32 s11, s10
	s_addc_u32 s7, s5, s10
	s_xor_b64 s[12:13], s[6:7], s[10:11]
	v_cvt_f32_u32_e32 v3, s12
	v_cvt_f32_u32_e32 v8, s13
	s_sub_u32 s5, 0, s12
	s_subb_u32 s11, 0, s13
	v_mov_b32_e32 v13, v10
	v_fmamk_f32 v3, v8, 0x4f800000, v3
	v_rcp_f32_e32 v3, v3
	s_nop 0
	v_mul_f32_e32 v3, 0x5f7ffffc, v3
	v_mul_f32_e32 v8, 0x2f800000, v3
	v_trunc_f32_e32 v8, v8
	v_fmamk_f32 v3, v8, 0xcf800000, v3
	v_cvt_u32_f32_e32 v8, v8
	v_cvt_u32_f32_e32 v3, v3
	v_readfirstlane_b32 s14, v8
	v_readfirstlane_b32 s6, v3
	s_mul_i32 s7, s5, s14
	s_mul_hi_u32 s16, s5, s6
	s_mul_i32 s15, s11, s6
	s_add_i32 s7, s16, s7
	s_add_i32 s7, s7, s15
	s_mul_i32 s17, s5, s6
	s_mul_i32 s16, s6, s7
	s_mul_hi_u32 s18, s6, s17
	s_mul_hi_u32 s15, s6, s7
	s_add_u32 s16, s18, s16
	s_addc_u32 s15, 0, s15
	s_mul_hi_u32 s19, s14, s17
	s_mul_i32 s17, s14, s17
	s_add_u32 s16, s16, s17
	s_mul_hi_u32 s18, s14, s7
	s_addc_u32 s15, s15, s19
	s_addc_u32 s16, s18, 0
	s_mul_i32 s7, s14, s7
	s_add_u32 s7, s15, s7
	s_addc_u32 s15, 0, s16
	s_add_u32 s16, s6, s7
	s_cselect_b64 s[6:7], -1, 0
	s_cmp_lg_u64 s[6:7], 0
	s_addc_u32 s14, s14, s15
	s_mul_i32 s6, s5, s14
	s_mul_hi_u32 s7, s5, s16
	s_add_i32 s6, s7, s6
	s_mul_i32 s11, s11, s16
	s_add_i32 s6, s6, s11
	s_mul_i32 s5, s5, s16
	s_mul_hi_u32 s11, s14, s5
	s_mul_i32 s15, s14, s5
	s_mul_i32 s18, s16, s6
	s_mul_hi_u32 s5, s16, s5
	s_mul_hi_u32 s17, s16, s6
	s_add_u32 s5, s5, s18
	s_addc_u32 s17, 0, s17
	s_add_u32 s5, s5, s15
	s_mul_hi_u32 s7, s14, s6
	s_addc_u32 s5, s17, s11
	s_addc_u32 s7, s7, 0
	s_mul_i32 s6, s14, s6
	s_add_u32 s5, s5, s6
	s_addc_u32 s11, 0, s7
	s_add_u32 s5, s16, s5
	s_cselect_b64 s[6:7], -1, 0
	v_mov_b32_e32 v3, v2
	s_cmp_lg_u64 s[6:7], 0
	v_lshl_add_u64 v[8:9], v[0:1], 0, v[2:3]
	s_addc_u32 s11, s14, s11
	v_xor_b32_e32 v16, v8, v2
	v_xor_b32_e32 v3, v9, v2
	v_mad_u64_u32 v[8:9], s[6:7], v16, s11, 0
	v_mul_hi_u32 v12, v16, s5
	v_lshl_add_u64 v[8:9], v[12:13], 0, v[8:9]
	v_mad_u64_u32 v[14:15], s[6:7], v3, s5, 0
	v_add_co_u32_e32 v8, vcc, v8, v14
	v_mad_u64_u32 v[12:13], s[6:7], v3, s11, 0
	s_nop 0
	v_addc_co_u32_e32 v8, vcc, v9, v15, vcc
	v_mov_b32_e32 v9, v10
	s_nop 0
	v_addc_co_u32_e32 v13, vcc, 0, v13, vcc
	v_lshl_add_u64 v[8:9], v[8:9], 0, v[12:13]
	v_mul_lo_u32 v12, s13, v8
	v_mul_lo_u32 v13, s12, v9
	v_mad_u64_u32 v[10:11], s[6:7], s12, v8, 0
	v_add3_u32 v14, v11, v13, v12
	v_sub_u32_e32 v11, v3, v14
	v_mov_b32_e32 v12, s13
	v_sub_co_u32_e32 v15, vcc, v16, v10
	v_xor_b32_e32 v2, s10, v2
	s_nop 0
	v_subb_co_u32_e64 v10, s[6:7], v11, v12, vcc
	v_subrev_co_u32_e64 v11, s[6:7], s12, v15
	v_subb_co_u32_e32 v3, vcc, v3, v14, vcc
	s_nop 0
	v_subbrev_co_u32_e64 v10, s[6:7], 0, v10, s[6:7]
	v_cmp_le_u32_e64 s[6:7], s13, v10
	v_cmp_le_u32_e32 vcc, s13, v3
	s_nop 0
	v_cndmask_b32_e64 v12, 0, -1, s[6:7]
	v_cmp_le_u32_e64 s[6:7], s12, v11
	s_nop 1
	v_cndmask_b32_e64 v11, 0, -1, s[6:7]
	v_cmp_eq_u32_e64 s[6:7], s13, v10
	s_nop 1
	v_cndmask_b32_e64 v16, v12, v11, s[6:7]
	v_lshl_add_u64 v[10:11], v[8:9], 0, 2
	v_lshl_add_u64 v[12:13], v[8:9], 0, 1
	v_cmp_ne_u32_e64 s[6:7], 0, v16
	s_nop 1
	v_cndmask_b32_e64 v11, v13, v11, s[6:7]
	v_cndmask_b32_e64 v13, 0, -1, vcc
	v_cmp_le_u32_e32 vcc, s12, v15
	s_nop 1
	v_cndmask_b32_e64 v14, 0, -1, vcc
	v_cmp_eq_u32_e32 vcc, s13, v3
	s_nop 1
	v_cndmask_b32_e32 v3, v13, v14, vcc
	v_cmp_ne_u32_e32 vcc, 0, v3
	s_nop 1
	v_cndmask_b32_e32 v3, v9, v11, vcc
	v_cndmask_b32_e64 v9, v12, v10, s[6:7]
	v_cndmask_b32_e32 v8, v8, v9, vcc
	v_xor_b32_e32 v8, v8, v2
	v_xor_b32_e32 v3, v3, v2
	v_sub_co_u32_e32 v8, vcc, v8, v2
	s_nop 1
	v_subb_co_u32_e32 v9, vcc, v3, v2, vcc
.LBB58_11:
	s_or_saveexec_b64 s[6:7], s[8:9]
	s_load_dwordx16 s[8:23], s[0:1], 0x18
	s_xor_b64 exec, exec, s[6:7]
	s_cbranch_execz .LBB58_13
; %bb.12:
	v_cvt_f32_u32_e32 v2, s2
	s_sub_i32 s5, 0, s2
	v_rcp_iflag_f32_e32 v2, v2
	s_nop 0
	v_mul_f32_e32 v2, 0x4f7ffffe, v2
	v_cvt_u32_f32_e32 v2, v2
	v_mul_lo_u32 v3, s5, v2
	v_mul_hi_u32 v3, v2, v3
	v_add_u32_e32 v2, v2, v3
	v_mul_hi_u32 v2, v0, v2
	v_mul_lo_u32 v3, v2, s2
	v_sub_u32_e32 v3, v0, v3
	v_add_u32_e32 v8, 1, v2
	v_subrev_u32_e32 v9, s2, v3
	v_cmp_le_u32_e32 vcc, s2, v3
	s_nop 1
	v_cndmask_b32_e32 v3, v3, v9, vcc
	v_cndmask_b32_e32 v2, v2, v8, vcc
	v_add_u32_e32 v8, 1, v2
	v_cmp_le_u32_e32 vcc, s2, v3
	v_mov_b32_e32 v9, 0
	s_nop 0
	v_cndmask_b32_e32 v8, v2, v8, vcc
.LBB58_13:
	s_or_b64 exec, exec, s[6:7]
	s_load_dwordx8 s[36:43], s[0:1], 0xb0
	v_mad_u64_u32 v[2:3], s[6:7], v6, s34, 0
	v_mul_lo_u32 v7, v7, s34
	v_mul_lo_u32 v10, v6, s35
	s_waitcnt lgkmcnt(0)
	s_sub_u32 s6, 0, s36
	s_subb_u32 s7, 0, s37
	s_sub_u32 s34, 0, s38
	s_subb_u32 s35, 0, s39
	;; [unrolled: 2-line block ×3, first 2 shown]
	v_cmp_gt_i64_e64 s[52:53], s[6:7], 0
	s_and_b64 s[52:53], s[52:53], exec
	s_cselect_b32 s2, s7, 0
	s_cselect_b32 s5, s6, 0
	v_cmp_gt_i64_e64 s[6:7], s[36:37], 0
	s_and_b64 s[6:7], s[6:7], exec
	v_cmp_gt_i64_e64 s[6:7], s[34:35], 0
	s_cselect_b32 s53, s37, 0
	s_cselect_b32 s52, s36, 0
	s_and_b64 s[6:7], s[6:7], exec
	v_add3_u32 v3, v3, v10, v7
	v_sub_co_u32_e32 v0, vcc, v0, v2
	v_cmp_gt_i64_e64 s[6:7], s[38:39], 0
	s_nop 0
	v_subb_co_u32_e32 v1, vcc, v1, v3, vcc
	s_cselect_b32 s33, s35, 0
	s_cselect_b32 s54, s34, 0
	s_and_b64 s[6:7], s[6:7], exec
	v_cmp_gt_i64_e64 s[6:7], s[50:51], 0
	v_mov_b32_e32 v2, s37
	v_subrev_co_u32_e32 v3, vcc, s36, v0
	s_cselect_b32 s35, s39, 0
	s_cselect_b32 s34, s38, 0
	s_and_b64 s[6:7], s[6:7], exec
	v_subb_co_u32_e32 v2, vcc, v1, v2, vcc
	v_cmp_gt_i64_e64 s[6:7], s[40:41], 0
	v_ashrrev_i32_e32 v6, 31, v2
	s_cselect_b32 s55, s51, 0
	s_cselect_b32 s56, s50, 0
	s_and_b64 s[6:7], s[6:7], exec
	v_xor_b32_e32 v7, v2, v6
	v_xor_b32_e32 v2, v3, v6
	s_cselect_b32 s7, s41, 0
	s_cselect_b32 s6, s40, 0
	v_sub_co_u32_e32 v2, vcc, v2, v6
	s_add_u32 s50, s36, s12
	s_nop 0
	v_subb_co_u32_e32 v3, vcc, v7, v6, vcc
	s_addc_u32 s51, s37, s13
	v_mov_b32_e32 v7, s51
	v_subrev_co_u32_e32 v6, vcc, s50, v0
	s_lshl_b64 s[36:37], s[36:37], 1
	s_nop 0
	v_subb_co_u32_e32 v7, vcc, v1, v7, vcc
	s_not_b64 s[50:51], s[52:53]
	v_lshl_add_u64 v[6:7], v[6:7], 0, 1
	s_add_u32 s36, s36, s50
	v_ashrrev_i32_e32 v10, 31, v7
	s_addc_u32 s37, s37, s51
	v_xor_b32_e32 v6, v6, v10
	s_add_u32 s5, s36, s5
	v_xor_b32_e32 v7, v7, v10
	v_sub_co_u32_e32 v6, vcc, v6, v10
	s_addc_u32 s2, s37, s2
	s_nop 0
	v_subb_co_u32_e32 v7, vcc, v7, v10, vcc
	s_add_u32 s5, s5, s12
	s_addc_u32 s2, s2, s13
	v_lshl_add_u64 v[6:7], v[0:1], 0, v[6:7]
	v_mov_b32_e32 v10, s2
	v_sub_co_u32_e32 v6, vcc, s5, v6
	s_add_u32 s2, s38, s10
	s_nop 0
	v_subb_co_u32_e32 v7, vcc, v10, v7, vcc
	v_lshl_add_u64 v[2:3], v[6:7], 0, v[2:3]
	v_mov_b32_e32 v6, s39
	v_subrev_co_u32_e32 v7, vcc, s38, v4
	s_addc_u32 s5, s39, s11
	s_nop 0
	v_subb_co_u32_e32 v6, vcc, v5, v6, vcc
	v_ashrrev_i32_e32 v10, 31, v6
	v_xor_b32_e32 v11, v6, v10
	v_xor_b32_e32 v6, v7, v10
	v_sub_co_u32_e32 v6, vcc, v6, v10
	s_lshl_b64 s[12:13], s[38:39], 1
	s_nop 0
	v_subb_co_u32_e32 v7, vcc, v11, v10, vcc
	v_mov_b32_e32 v11, s5
	v_subrev_co_u32_e32 v10, vcc, s2, v4
	s_not_b64 s[34:35], s[34:35]
	s_nop 0
	v_subb_co_u32_e32 v11, vcc, v5, v11, vcc
	v_lshl_add_u64 v[10:11], v[10:11], 0, 1
	s_add_u32 s2, s12, s34
	v_ashrrev_i32_e32 v12, 31, v11
	s_addc_u32 s5, s13, s35
	v_xor_b32_e32 v10, v10, v12
	s_add_u32 s2, s2, s54
	v_xor_b32_e32 v11, v11, v12
	v_sub_co_u32_e32 v10, vcc, v10, v12
	s_addc_u32 s5, s5, s33
	s_nop 0
	v_subb_co_u32_e32 v11, vcc, v11, v12, vcc
	s_add_u32 s2, s2, s10
	s_addc_u32 s5, s5, s11
	v_lshl_add_u64 v[10:11], v[4:5], 0, v[10:11]
	v_mov_b32_e32 v12, s5
	v_sub_co_u32_e32 v10, vcc, s2, v10
	s_add_u32 s2, s40, s8
	s_nop 0
	v_subb_co_u32_e32 v11, vcc, v12, v11, vcc
	v_lshl_add_u64 v[6:7], v[10:11], 0, v[6:7]
	v_mov_b32_e32 v10, s41
	v_subrev_co_u32_e32 v11, vcc, s40, v8
	s_addc_u32 s5, s41, s9
	s_nop 0
	v_subb_co_u32_e32 v10, vcc, v9, v10, vcc
	v_ashrrev_i32_e32 v12, 31, v10
	v_xor_b32_e32 v13, v10, v12
	v_xor_b32_e32 v10, v11, v12
	v_sub_co_u32_e32 v10, vcc, v10, v12
	s_lshl_b64 s[10:11], s[40:41], 1
	s_nop 0
	v_subb_co_u32_e32 v11, vcc, v13, v12, vcc
	v_mov_b32_e32 v13, s5
	v_subrev_co_u32_e32 v12, vcc, s2, v8
	s_not_b64 s[6:7], s[6:7]
	s_nop 0
	v_subb_co_u32_e32 v13, vcc, v9, v13, vcc
	v_lshl_add_u64 v[12:13], v[12:13], 0, 1
	s_add_u32 s2, s10, s6
	v_ashrrev_i32_e32 v14, 31, v13
	s_addc_u32 s5, s11, s7
	v_xor_b32_e32 v12, v12, v14
	s_add_u32 s2, s2, s56
	s_load_dwordx2 s[0:1], s[0:1], 0xd0
	v_xor_b32_e32 v13, v13, v14
	v_sub_co_u32_e32 v12, vcc, v12, v14
	s_addc_u32 s5, s5, s55
	s_nop 0
	v_subb_co_u32_e32 v13, vcc, v13, v14, vcc
	s_add_u32 s2, s2, s8
	s_addc_u32 s5, s5, s9
	v_lshl_add_u64 v[12:13], v[8:9], 0, v[12:13]
	v_sub_co_u32_e32 v12, vcc, s2, v12
	s_add_u32 s2, s42, s3
	s_addc_u32 s3, s43, 0
	s_waitcnt lgkmcnt(0)
	s_add_u32 s4, s0, s4
	v_mov_b32_e32 v14, s5
	s_addc_u32 s5, s1, 0
	s_mul_i32 s0, s14, s5
	s_mul_hi_u32 s1, s14, s4
	s_add_i32 s0, s1, s0
	s_mul_i32 s1, s15, s4
	s_add_i32 s0, s0, s1
	s_mul_i32 s1, s14, s4
	s_add_u32 s1, s48, s1
	s_addc_u32 s6, s49, s0
	s_mul_i32 s0, s16, s3
	s_mul_hi_u32 s7, s16, s2
	s_add_i32 s0, s7, s0
	s_mul_i32 s7, s17, s2
	s_add_i32 s7, s0, s7
	s_mul_i32 s0, s16, s2
	s_add_u32 s0, s1, s0
	v_subb_co_u32_e32 v13, vcc, v14, v13, vcc
	s_addc_u32 s1, s6, s7
	v_lshl_add_u64 v[10:11], v[12:13], 0, v[10:11]
	v_mov_b64_e32 v[12:13], s[0:1]
	v_mul_lo_u32 v14, v10, s19
	v_mul_lo_u32 v15, v11, s18
	v_mad_u64_u32 v[10:11], s[0:1], v10, s18, v[12:13]
	v_add3_u32 v11, v15, v11, v14
	v_mad_u64_u32 v[10:11], s[0:1], v6, s20, v[10:11]
	v_mul_lo_u32 v6, v6, s21
	v_mul_lo_u32 v7, v7, s20
	v_add3_u32 v11, v7, v11, v6
	v_mad_u64_u32 v[6:7], s[0:1], v2, s22, v[10:11]
	v_mul_lo_u32 v2, v2, s23
	v_mul_lo_u32 v3, v3, s22
	v_add3_u32 v7, v3, v7, v2
	global_load_ubyte v6, v[6:7], off
	s_mul_i32 s0, s24, s5
	s_mul_hi_u32 s1, s24, s4
	s_add_i32 s0, s1, s0
	s_mul_i32 s1, s25, s4
	s_add_i32 s0, s0, s1
	s_mul_i32 s1, s24, s4
	s_add_u32 s1, s46, s1
	s_addc_u32 s4, s47, s0
	s_mul_i32 s0, s26, s3
	s_mul_hi_u32 s3, s26, s2
	s_add_i32 s0, s3, s0
	s_mul_i32 s3, s27, s2
	s_add_i32 s3, s0, s3
	s_mul_i32 s0, s26, s2
	s_add_u32 s0, s1, s0
	s_addc_u32 s1, s4, s3
	v_mov_b64_e32 v[2:3], s[0:1]
	v_mad_u64_u32 v[2:3], s[0:1], v8, s28, v[2:3]
	v_mul_lo_u32 v7, v8, s29
	v_mul_lo_u32 v8, v9, s28
	v_add3_u32 v3, v8, v3, v7
	v_mad_u64_u32 v[2:3], s[0:1], v4, s30, v[2:3]
	v_mul_lo_u32 v4, v4, s31
	v_mul_lo_u32 v5, v5, s30
	v_add3_u32 v3, v5, v3, v4
	;; [unrolled: 4-line block ×3, first 2 shown]
	s_waitcnt vmcnt(0)
	global_store_byte v[2:3], v6, off
.LBB58_14:
	s_endpgm
	.section	.rodata,"a",@progbits
	.p2align	6, 0x0
	.amdhsa_kernel _ZN2at6native12_GLOBAL__N_127reflection_pad3d_out_kernelIaEEvN5torch10headeronly6detail27GenericPackedTensorAccessorINS5_14TensorAccessorIN3c108ArrayRefIlEEKT_Lm4ENS4_16DefaultPtrTraitsElEENS_6detail16IndexBoundsCheckILm5ElEESC_Lm5ESD_lEENS6_INS7_ISA_SB_Lm4ESD_lEESH_SB_Lm5ESD_lEElllll
		.amdhsa_group_segment_fixed_size 0
		.amdhsa_private_segment_fixed_size 0
		.amdhsa_kernarg_size 472
		.amdhsa_user_sgpr_count 2
		.amdhsa_user_sgpr_dispatch_ptr 0
		.amdhsa_user_sgpr_queue_ptr 0
		.amdhsa_user_sgpr_kernarg_segment_ptr 1
		.amdhsa_user_sgpr_dispatch_id 0
		.amdhsa_user_sgpr_kernarg_preload_length 0
		.amdhsa_user_sgpr_kernarg_preload_offset 0
		.amdhsa_user_sgpr_private_segment_size 0
		.amdhsa_uses_dynamic_stack 0
		.amdhsa_enable_private_segment 0
		.amdhsa_system_sgpr_workgroup_id_x 1
		.amdhsa_system_sgpr_workgroup_id_y 1
		.amdhsa_system_sgpr_workgroup_id_z 1
		.amdhsa_system_sgpr_workgroup_info 0
		.amdhsa_system_vgpr_workitem_id 0
		.amdhsa_next_free_vgpr 17
		.amdhsa_next_free_sgpr 57
		.amdhsa_accum_offset 20
		.amdhsa_reserve_vcc 1
		.amdhsa_float_round_mode_32 0
		.amdhsa_float_round_mode_16_64 0
		.amdhsa_float_denorm_mode_32 3
		.amdhsa_float_denorm_mode_16_64 3
		.amdhsa_dx10_clamp 1
		.amdhsa_ieee_mode 1
		.amdhsa_fp16_overflow 0
		.amdhsa_tg_split 0
		.amdhsa_exception_fp_ieee_invalid_op 0
		.amdhsa_exception_fp_denorm_src 0
		.amdhsa_exception_fp_ieee_div_zero 0
		.amdhsa_exception_fp_ieee_overflow 0
		.amdhsa_exception_fp_ieee_underflow 0
		.amdhsa_exception_fp_ieee_inexact 0
		.amdhsa_exception_int_div_zero 0
	.end_amdhsa_kernel
	.section	.text._ZN2at6native12_GLOBAL__N_127reflection_pad3d_out_kernelIaEEvN5torch10headeronly6detail27GenericPackedTensorAccessorINS5_14TensorAccessorIN3c108ArrayRefIlEEKT_Lm4ENS4_16DefaultPtrTraitsElEENS_6detail16IndexBoundsCheckILm5ElEESC_Lm5ESD_lEENS6_INS7_ISA_SB_Lm4ESD_lEESH_SB_Lm5ESD_lEElllll,"axG",@progbits,_ZN2at6native12_GLOBAL__N_127reflection_pad3d_out_kernelIaEEvN5torch10headeronly6detail27GenericPackedTensorAccessorINS5_14TensorAccessorIN3c108ArrayRefIlEEKT_Lm4ENS4_16DefaultPtrTraitsElEENS_6detail16IndexBoundsCheckILm5ElEESC_Lm5ESD_lEENS6_INS7_ISA_SB_Lm4ESD_lEESH_SB_Lm5ESD_lEElllll,comdat
.Lfunc_end58:
	.size	_ZN2at6native12_GLOBAL__N_127reflection_pad3d_out_kernelIaEEvN5torch10headeronly6detail27GenericPackedTensorAccessorINS5_14TensorAccessorIN3c108ArrayRefIlEEKT_Lm4ENS4_16DefaultPtrTraitsElEENS_6detail16IndexBoundsCheckILm5ElEESC_Lm5ESD_lEENS6_INS7_ISA_SB_Lm4ESD_lEESH_SB_Lm5ESD_lEElllll, .Lfunc_end58-_ZN2at6native12_GLOBAL__N_127reflection_pad3d_out_kernelIaEEvN5torch10headeronly6detail27GenericPackedTensorAccessorINS5_14TensorAccessorIN3c108ArrayRefIlEEKT_Lm4ENS4_16DefaultPtrTraitsElEENS_6detail16IndexBoundsCheckILm5ElEESC_Lm5ESD_lEENS6_INS7_ISA_SB_Lm4ESD_lEESH_SB_Lm5ESD_lEElllll
                                        ; -- End function
	.set _ZN2at6native12_GLOBAL__N_127reflection_pad3d_out_kernelIaEEvN5torch10headeronly6detail27GenericPackedTensorAccessorINS5_14TensorAccessorIN3c108ArrayRefIlEEKT_Lm4ENS4_16DefaultPtrTraitsElEENS_6detail16IndexBoundsCheckILm5ElEESC_Lm5ESD_lEENS6_INS7_ISA_SB_Lm4ESD_lEESH_SB_Lm5ESD_lEElllll.num_vgpr, 17
	.set _ZN2at6native12_GLOBAL__N_127reflection_pad3d_out_kernelIaEEvN5torch10headeronly6detail27GenericPackedTensorAccessorINS5_14TensorAccessorIN3c108ArrayRefIlEEKT_Lm4ENS4_16DefaultPtrTraitsElEENS_6detail16IndexBoundsCheckILm5ElEESC_Lm5ESD_lEENS6_INS7_ISA_SB_Lm4ESD_lEESH_SB_Lm5ESD_lEElllll.num_agpr, 0
	.set _ZN2at6native12_GLOBAL__N_127reflection_pad3d_out_kernelIaEEvN5torch10headeronly6detail27GenericPackedTensorAccessorINS5_14TensorAccessorIN3c108ArrayRefIlEEKT_Lm4ENS4_16DefaultPtrTraitsElEENS_6detail16IndexBoundsCheckILm5ElEESC_Lm5ESD_lEENS6_INS7_ISA_SB_Lm4ESD_lEESH_SB_Lm5ESD_lEElllll.numbered_sgpr, 57
	.set _ZN2at6native12_GLOBAL__N_127reflection_pad3d_out_kernelIaEEvN5torch10headeronly6detail27GenericPackedTensorAccessorINS5_14TensorAccessorIN3c108ArrayRefIlEEKT_Lm4ENS4_16DefaultPtrTraitsElEENS_6detail16IndexBoundsCheckILm5ElEESC_Lm5ESD_lEENS6_INS7_ISA_SB_Lm4ESD_lEESH_SB_Lm5ESD_lEElllll.num_named_barrier, 0
	.set _ZN2at6native12_GLOBAL__N_127reflection_pad3d_out_kernelIaEEvN5torch10headeronly6detail27GenericPackedTensorAccessorINS5_14TensorAccessorIN3c108ArrayRefIlEEKT_Lm4ENS4_16DefaultPtrTraitsElEENS_6detail16IndexBoundsCheckILm5ElEESC_Lm5ESD_lEENS6_INS7_ISA_SB_Lm4ESD_lEESH_SB_Lm5ESD_lEElllll.private_seg_size, 0
	.set _ZN2at6native12_GLOBAL__N_127reflection_pad3d_out_kernelIaEEvN5torch10headeronly6detail27GenericPackedTensorAccessorINS5_14TensorAccessorIN3c108ArrayRefIlEEKT_Lm4ENS4_16DefaultPtrTraitsElEENS_6detail16IndexBoundsCheckILm5ElEESC_Lm5ESD_lEENS6_INS7_ISA_SB_Lm4ESD_lEESH_SB_Lm5ESD_lEElllll.uses_vcc, 1
	.set _ZN2at6native12_GLOBAL__N_127reflection_pad3d_out_kernelIaEEvN5torch10headeronly6detail27GenericPackedTensorAccessorINS5_14TensorAccessorIN3c108ArrayRefIlEEKT_Lm4ENS4_16DefaultPtrTraitsElEENS_6detail16IndexBoundsCheckILm5ElEESC_Lm5ESD_lEENS6_INS7_ISA_SB_Lm4ESD_lEESH_SB_Lm5ESD_lEElllll.uses_flat_scratch, 0
	.set _ZN2at6native12_GLOBAL__N_127reflection_pad3d_out_kernelIaEEvN5torch10headeronly6detail27GenericPackedTensorAccessorINS5_14TensorAccessorIN3c108ArrayRefIlEEKT_Lm4ENS4_16DefaultPtrTraitsElEENS_6detail16IndexBoundsCheckILm5ElEESC_Lm5ESD_lEENS6_INS7_ISA_SB_Lm4ESD_lEESH_SB_Lm5ESD_lEElllll.has_dyn_sized_stack, 0
	.set _ZN2at6native12_GLOBAL__N_127reflection_pad3d_out_kernelIaEEvN5torch10headeronly6detail27GenericPackedTensorAccessorINS5_14TensorAccessorIN3c108ArrayRefIlEEKT_Lm4ENS4_16DefaultPtrTraitsElEENS_6detail16IndexBoundsCheckILm5ElEESC_Lm5ESD_lEENS6_INS7_ISA_SB_Lm4ESD_lEESH_SB_Lm5ESD_lEElllll.has_recursion, 0
	.set _ZN2at6native12_GLOBAL__N_127reflection_pad3d_out_kernelIaEEvN5torch10headeronly6detail27GenericPackedTensorAccessorINS5_14TensorAccessorIN3c108ArrayRefIlEEKT_Lm4ENS4_16DefaultPtrTraitsElEENS_6detail16IndexBoundsCheckILm5ElEESC_Lm5ESD_lEENS6_INS7_ISA_SB_Lm4ESD_lEESH_SB_Lm5ESD_lEElllll.has_indirect_call, 0
	.section	.AMDGPU.csdata,"",@progbits
; Kernel info:
; codeLenInByte = 3596
; TotalNumSgprs: 63
; NumVgprs: 17
; NumAgprs: 0
; TotalNumVgprs: 17
; ScratchSize: 0
; MemoryBound: 0
; FloatMode: 240
; IeeeMode: 1
; LDSByteSize: 0 bytes/workgroup (compile time only)
; SGPRBlocks: 7
; VGPRBlocks: 2
; NumSGPRsForWavesPerEU: 63
; NumVGPRsForWavesPerEU: 17
; AccumOffset: 20
; Occupancy: 8
; WaveLimiterHint : 0
; COMPUTE_PGM_RSRC2:SCRATCH_EN: 0
; COMPUTE_PGM_RSRC2:USER_SGPR: 2
; COMPUTE_PGM_RSRC2:TRAP_HANDLER: 0
; COMPUTE_PGM_RSRC2:TGID_X_EN: 1
; COMPUTE_PGM_RSRC2:TGID_Y_EN: 1
; COMPUTE_PGM_RSRC2:TGID_Z_EN: 1
; COMPUTE_PGM_RSRC2:TIDIG_COMP_CNT: 0
; COMPUTE_PGM_RSRC3_GFX90A:ACCUM_OFFSET: 4
; COMPUTE_PGM_RSRC3_GFX90A:TG_SPLIT: 0
	.section	.text._ZN2at6native12_GLOBAL__N_127reflection_pad3d_out_kernelIiEEvN5torch10headeronly6detail27GenericPackedTensorAccessorINS5_14TensorAccessorIN3c108ArrayRefIlEEKT_Lm4ENS4_16DefaultPtrTraitsElEENS_6detail16IndexBoundsCheckILm5ElEESC_Lm5ESD_lEENS6_INS7_ISA_SB_Lm4ESD_lEESH_SB_Lm5ESD_lEElllll,"axG",@progbits,_ZN2at6native12_GLOBAL__N_127reflection_pad3d_out_kernelIiEEvN5torch10headeronly6detail27GenericPackedTensorAccessorINS5_14TensorAccessorIN3c108ArrayRefIlEEKT_Lm4ENS4_16DefaultPtrTraitsElEENS_6detail16IndexBoundsCheckILm5ElEESC_Lm5ESD_lEENS6_INS7_ISA_SB_Lm4ESD_lEESH_SB_Lm5ESD_lEElllll,comdat
	.globl	_ZN2at6native12_GLOBAL__N_127reflection_pad3d_out_kernelIiEEvN5torch10headeronly6detail27GenericPackedTensorAccessorINS5_14TensorAccessorIN3c108ArrayRefIlEEKT_Lm4ENS4_16DefaultPtrTraitsElEENS_6detail16IndexBoundsCheckILm5ElEESC_Lm5ESD_lEENS6_INS7_ISA_SB_Lm4ESD_lEESH_SB_Lm5ESD_lEElllll ; -- Begin function _ZN2at6native12_GLOBAL__N_127reflection_pad3d_out_kernelIiEEvN5torch10headeronly6detail27GenericPackedTensorAccessorINS5_14TensorAccessorIN3c108ArrayRefIlEEKT_Lm4ENS4_16DefaultPtrTraitsElEENS_6detail16IndexBoundsCheckILm5ElEESC_Lm5ESD_lEENS6_INS7_ISA_SB_Lm4ESD_lEESH_SB_Lm5ESD_lEElllll
	.p2align	8
	.type	_ZN2at6native12_GLOBAL__N_127reflection_pad3d_out_kernelIiEEvN5torch10headeronly6detail27GenericPackedTensorAccessorINS5_14TensorAccessorIN3c108ArrayRefIlEEKT_Lm4ENS4_16DefaultPtrTraitsElEENS_6detail16IndexBoundsCheckILm5ElEESC_Lm5ESD_lEENS6_INS7_ISA_SB_Lm4ESD_lEESH_SB_Lm5ESD_lEElllll,@function
_ZN2at6native12_GLOBAL__N_127reflection_pad3d_out_kernelIiEEvN5torch10headeronly6detail27GenericPackedTensorAccessorINS5_14TensorAccessorIN3c108ArrayRefIlEEKT_Lm4ENS4_16DefaultPtrTraitsElEENS_6detail16IndexBoundsCheckILm5ElEESC_Lm5ESD_lEENS6_INS7_ISA_SB_Lm4ESD_lEESH_SB_Lm5ESD_lEElllll: ; @_ZN2at6native12_GLOBAL__N_127reflection_pad3d_out_kernelIiEEvN5torch10headeronly6detail27GenericPackedTensorAccessorINS5_14TensorAccessorIN3c108ArrayRefIlEEKT_Lm4ENS4_16DefaultPtrTraitsElEENS_6detail16IndexBoundsCheckILm5ElEESC_Lm5ESD_lEENS6_INS7_ISA_SB_Lm4ESD_lEESH_SB_Lm5ESD_lEElllll
; %bb.0:
	s_load_dword s5, s[0:1], 0xe4
	s_load_dwordx4 s[8:11], s[0:1], 0x70
	s_load_dwordx2 s[34:35], s[0:1], 0x80
	v_mov_b32_e32 v2, 0
	v_mov_b32_e32 v1, v2
	s_waitcnt lgkmcnt(0)
	s_and_b32 s5, s5, 0xffff
	v_mov_b32_e32 v3, s2
	v_mad_u64_u32 v[0:1], s[6:7], s5, v3, v[0:1]
	s_mul_i32 s2, s34, s11
	s_mul_hi_u32 s5, s34, s10
	s_add_i32 s5, s5, s2
	s_mul_i32 s2, s35, s10
	s_add_i32 s5, s5, s2
	s_mul_i32 s2, s34, s10
	s_mul_i32 s6, s2, s9
	s_mul_hi_u32 s7, s2, s8
	s_add_i32 s6, s7, s6
	s_mul_i32 s7, s5, s8
	s_add_i32 s7, s6, s7
	s_mul_i32 s6, s2, s8
	v_cmp_gt_i64_e32 vcc, s[6:7], v[0:1]
	s_and_saveexec_b64 s[6:7], vcc
	s_cbranch_execz .LBB59_14
; %bb.1:
	v_or_b32_e32 v3, s35, v1
	v_cmp_ne_u64_e32 vcc, 0, v[2:3]
	v_ashrrev_i32_e32 v2, 31, v1
                                        ; implicit-def: $vgpr6_vgpr7
	s_and_saveexec_b64 s[6:7], vcc
	s_xor_b64 s[8:9], exec, s[6:7]
	s_cbranch_execz .LBB59_3
; %bb.2:
	s_ashr_i32 s12, s35, 31
	s_add_u32 s6, s34, s12
	s_mov_b32 s13, s12
	s_addc_u32 s7, s35, s12
	s_xor_b64 s[14:15], s[6:7], s[12:13]
	v_cvt_f32_u32_e32 v3, s14
	v_cvt_f32_u32_e32 v4, s15
	s_sub_u32 s13, 0, s14
	s_subb_u32 s16, 0, s15
	v_mov_b32_e32 v7, 0
	v_fmamk_f32 v3, v4, 0x4f800000, v3
	v_rcp_f32_e32 v3, v3
	s_nop 0
	v_mul_f32_e32 v3, 0x5f7ffffc, v3
	v_mul_f32_e32 v4, 0x2f800000, v3
	v_trunc_f32_e32 v4, v4
	v_fmamk_f32 v3, v4, 0xcf800000, v3
	v_cvt_u32_f32_e32 v4, v4
	v_cvt_u32_f32_e32 v3, v3
	v_readfirstlane_b32 s17, v4
	v_readfirstlane_b32 s6, v3
	s_mul_i32 s7, s13, s17
	s_mul_hi_u32 s19, s13, s6
	s_mul_i32 s18, s16, s6
	s_add_i32 s7, s19, s7
	s_add_i32 s7, s7, s18
	s_mul_i32 s20, s13, s6
	s_mul_i32 s19, s6, s7
	s_mul_hi_u32 s21, s6, s20
	s_mul_hi_u32 s18, s6, s7
	s_add_u32 s19, s21, s19
	s_addc_u32 s18, 0, s18
	s_mul_hi_u32 s22, s17, s20
	s_mul_i32 s20, s17, s20
	s_add_u32 s19, s19, s20
	s_mul_hi_u32 s21, s17, s7
	s_addc_u32 s18, s18, s22
	s_addc_u32 s19, s21, 0
	s_mul_i32 s7, s17, s7
	s_add_u32 s7, s18, s7
	s_addc_u32 s18, 0, s19
	s_add_u32 s19, s6, s7
	s_cselect_b64 s[6:7], -1, 0
	s_cmp_lg_u64 s[6:7], 0
	s_addc_u32 s17, s17, s18
	s_mul_i32 s6, s13, s17
	s_mul_hi_u32 s7, s13, s19
	s_add_i32 s6, s7, s6
	s_mul_i32 s16, s16, s19
	s_add_i32 s6, s6, s16
	s_mul_i32 s13, s13, s19
	s_mul_hi_u32 s16, s17, s13
	s_mul_i32 s18, s17, s13
	s_mul_i32 s21, s19, s6
	s_mul_hi_u32 s13, s19, s13
	s_mul_hi_u32 s20, s19, s6
	s_add_u32 s13, s13, s21
	s_addc_u32 s20, 0, s20
	s_add_u32 s13, s13, s18
	s_mul_hi_u32 s7, s17, s6
	s_addc_u32 s13, s20, s16
	s_addc_u32 s7, s7, 0
	s_mul_i32 s6, s17, s6
	s_add_u32 s6, s13, s6
	s_addc_u32 s13, 0, s7
	s_add_u32 s16, s19, s6
	s_cselect_b64 s[6:7], -1, 0
	v_mov_b32_e32 v3, v2
	s_cmp_lg_u64 s[6:7], 0
	v_lshl_add_u64 v[4:5], v[0:1], 0, v[2:3]
	s_addc_u32 s13, s17, s13
	v_xor_b32_e32 v12, v4, v2
	v_xor_b32_e32 v3, v5, v2
	v_mad_u64_u32 v[4:5], s[6:7], v12, s13, 0
	v_mul_hi_u32 v6, v12, s16
	v_lshl_add_u64 v[4:5], v[6:7], 0, v[4:5]
	v_mad_u64_u32 v[10:11], s[6:7], v3, s16, 0
	v_add_co_u32_e32 v4, vcc, v4, v10
	v_mad_u64_u32 v[8:9], s[6:7], v3, s13, 0
	s_nop 0
	v_addc_co_u32_e32 v6, vcc, v5, v11, vcc
	s_nop 1
	v_addc_co_u32_e32 v9, vcc, 0, v9, vcc
	v_lshl_add_u64 v[4:5], v[6:7], 0, v[8:9]
	v_mul_lo_u32 v8, s15, v4
	v_mul_lo_u32 v9, s14, v5
	v_mad_u64_u32 v[6:7], s[6:7], s14, v4, 0
	v_add3_u32 v10, v7, v9, v8
	v_sub_u32_e32 v7, v3, v10
	v_mov_b32_e32 v8, s15
	v_sub_co_u32_e32 v11, vcc, v12, v6
	s_nop 1
	v_subb_co_u32_e64 v6, s[6:7], v7, v8, vcc
	v_subrev_co_u32_e64 v7, s[6:7], s14, v11
	v_subb_co_u32_e32 v3, vcc, v3, v10, vcc
	s_nop 0
	v_subbrev_co_u32_e64 v6, s[6:7], 0, v6, s[6:7]
	v_cmp_le_u32_e64 s[6:7], s15, v6
	v_cmp_le_u32_e32 vcc, s15, v3
	s_nop 0
	v_cndmask_b32_e64 v8, 0, -1, s[6:7]
	v_cmp_le_u32_e64 s[6:7], s14, v7
	s_nop 1
	v_cndmask_b32_e64 v7, 0, -1, s[6:7]
	v_cmp_eq_u32_e64 s[6:7], s15, v6
	s_nop 1
	v_cndmask_b32_e64 v12, v8, v7, s[6:7]
	v_lshl_add_u64 v[6:7], v[4:5], 0, 2
	v_lshl_add_u64 v[8:9], v[4:5], 0, 1
	v_cmp_ne_u32_e64 s[6:7], 0, v12
	s_nop 1
	v_cndmask_b32_e64 v7, v9, v7, s[6:7]
	v_cndmask_b32_e64 v9, 0, -1, vcc
	v_cmp_le_u32_e32 vcc, s14, v11
	s_nop 1
	v_cndmask_b32_e64 v10, 0, -1, vcc
	v_cmp_eq_u32_e32 vcc, s15, v3
	s_nop 1
	v_cndmask_b32_e32 v3, v9, v10, vcc
	v_cmp_ne_u32_e32 vcc, 0, v3
	s_nop 1
	v_cndmask_b32_e32 v3, v5, v7, vcc
	v_cndmask_b32_e64 v5, v8, v6, s[6:7]
	v_cndmask_b32_e32 v4, v4, v5, vcc
	v_xor_b32_e32 v5, s12, v2
	v_xor_b32_e32 v4, v4, v5
	v_xor_b32_e32 v3, v3, v5
	v_sub_co_u32_e32 v6, vcc, v4, v5
	s_nop 1
	v_subb_co_u32_e32 v7, vcc, v3, v5, vcc
.LBB59_3:
	s_andn2_saveexec_b64 s[6:7], s[8:9]
	s_cbranch_execz .LBB59_5
; %bb.4:
	v_cvt_f32_u32_e32 v3, s34
	s_sub_i32 s8, 0, s34
	v_mov_b32_e32 v7, 0
	v_rcp_iflag_f32_e32 v3, v3
	s_nop 0
	v_mul_f32_e32 v3, 0x4f7ffffe, v3
	v_cvt_u32_f32_e32 v3, v3
	v_mul_lo_u32 v4, s8, v3
	v_mul_hi_u32 v4, v3, v4
	v_add_u32_e32 v3, v3, v4
	v_mul_hi_u32 v3, v0, v3
	v_mul_lo_u32 v4, v3, s34
	v_sub_u32_e32 v4, v0, v4
	v_add_u32_e32 v5, 1, v3
	v_subrev_u32_e32 v6, s34, v4
	v_cmp_le_u32_e32 vcc, s34, v4
	s_nop 1
	v_cndmask_b32_e32 v4, v4, v6, vcc
	v_cndmask_b32_e32 v3, v3, v5, vcc
	v_add_u32_e32 v5, 1, v3
	v_cmp_le_u32_e32 vcc, s34, v4
	s_nop 1
	v_cndmask_b32_e32 v6, v3, v5, vcc
.LBB59_5:
	s_or_b64 exec, exec, s[6:7]
	v_or_b32_e32 v9, s11, v7
	v_mov_b32_e32 v8, 0
	v_cmp_ne_u64_e32 vcc, 0, v[8:9]
                                        ; implicit-def: $vgpr4_vgpr5
	s_and_saveexec_b64 s[6:7], vcc
	s_xor_b64 s[12:13], exec, s[6:7]
	s_cbranch_execz .LBB59_7
; %bb.6:
	s_ashr_i32 s6, s11, 31
	s_add_u32 s8, s10, s6
	s_mov_b32 s7, s6
	s_addc_u32 s9, s11, s6
	s_xor_b64 s[14:15], s[8:9], s[6:7]
	v_cvt_f32_u32_e32 v3, s14
	v_cvt_f32_u32_e32 v4, s15
	s_sub_u32 s8, 0, s14
	s_subb_u32 s9, 0, s15
	v_ashrrev_i32_e32 v10, 31, v7
	v_fmamk_f32 v3, v4, 0x4f800000, v3
	v_rcp_f32_e32 v3, v3
	v_mov_b32_e32 v11, v10
	v_mov_b32_e32 v13, v8
	v_mul_f32_e32 v3, 0x5f7ffffc, v3
	v_mul_f32_e32 v4, 0x2f800000, v3
	v_trunc_f32_e32 v4, v4
	v_fmamk_f32 v3, v4, 0xcf800000, v3
	v_cvt_u32_f32_e32 v4, v4
	v_cvt_u32_f32_e32 v3, v3
	v_readfirstlane_b32 s11, v4
	v_readfirstlane_b32 s6, v3
	s_mul_i32 s7, s8, s11
	s_mul_hi_u32 s17, s8, s6
	s_mul_i32 s16, s9, s6
	s_add_i32 s7, s17, s7
	s_add_i32 s7, s7, s16
	s_mul_i32 s18, s8, s6
	s_mul_i32 s17, s6, s7
	s_mul_hi_u32 s19, s6, s18
	s_mul_hi_u32 s16, s6, s7
	s_add_u32 s17, s19, s17
	s_addc_u32 s16, 0, s16
	s_mul_hi_u32 s20, s11, s18
	s_mul_i32 s18, s11, s18
	s_add_u32 s17, s17, s18
	s_mul_hi_u32 s19, s11, s7
	s_addc_u32 s16, s16, s20
	s_addc_u32 s17, s19, 0
	s_mul_i32 s7, s11, s7
	s_add_u32 s7, s16, s7
	s_addc_u32 s16, 0, s17
	s_add_u32 s17, s6, s7
	s_cselect_b64 s[6:7], -1, 0
	s_cmp_lg_u64 s[6:7], 0
	s_addc_u32 s11, s11, s16
	s_mul_i32 s6, s8, s11
	s_mul_hi_u32 s7, s8, s17
	s_add_i32 s6, s7, s6
	s_mul_i32 s9, s9, s17
	s_add_i32 s6, s6, s9
	s_mul_i32 s8, s8, s17
	s_mul_hi_u32 s9, s11, s8
	s_mul_i32 s16, s11, s8
	s_mul_i32 s19, s17, s6
	s_mul_hi_u32 s8, s17, s8
	s_mul_hi_u32 s18, s17, s6
	s_add_u32 s8, s8, s19
	s_addc_u32 s18, 0, s18
	s_add_u32 s8, s8, s16
	s_mul_hi_u32 s7, s11, s6
	s_addc_u32 s8, s18, s9
	s_addc_u32 s7, s7, 0
	s_mul_i32 s6, s11, s6
	s_add_u32 s6, s8, s6
	s_addc_u32 s8, 0, s7
	s_add_u32 s9, s17, s6
	s_cselect_b64 s[6:7], -1, 0
	s_cmp_lg_u64 s[6:7], 0
	v_lshl_add_u64 v[4:5], v[6:7], 0, v[10:11]
	s_addc_u32 s8, s11, s8
	v_xor_b32_e32 v9, v4, v10
	v_xor_b32_e32 v3, v5, v10
	v_mad_u64_u32 v[4:5], s[6:7], v9, s8, 0
	v_mul_hi_u32 v12, v9, s9
	v_lshl_add_u64 v[4:5], v[12:13], 0, v[4:5]
	v_mad_u64_u32 v[14:15], s[6:7], v3, s9, 0
	v_add_co_u32_e32 v4, vcc, v4, v14
	v_mad_u64_u32 v[12:13], s[6:7], v3, s8, 0
	s_nop 0
	v_addc_co_u32_e32 v4, vcc, v5, v15, vcc
	v_mov_b32_e32 v5, v8
	s_nop 0
	v_addc_co_u32_e32 v13, vcc, 0, v13, vcc
	v_lshl_add_u64 v[4:5], v[4:5], 0, v[12:13]
	v_mul_lo_u32 v8, s15, v4
	v_mul_lo_u32 v11, s14, v5
	v_mad_u64_u32 v[4:5], s[6:7], s14, v4, 0
	v_add3_u32 v5, v5, v11, v8
	v_sub_u32_e32 v8, v3, v5
	v_mov_b32_e32 v11, s15
	v_sub_co_u32_e32 v4, vcc, v9, v4
	s_nop 1
	v_subb_co_u32_e64 v8, s[6:7], v8, v11, vcc
	v_subrev_co_u32_e64 v9, s[6:7], s14, v4
	v_subb_co_u32_e32 v3, vcc, v3, v5, vcc
	s_nop 0
	v_subbrev_co_u32_e64 v12, s[8:9], 0, v8, s[6:7]
	v_cmp_le_u32_e64 s[8:9], s15, v12
	v_subb_co_u32_e64 v8, s[6:7], v8, v11, s[6:7]
	s_nop 0
	v_cndmask_b32_e64 v13, 0, -1, s[8:9]
	v_cmp_le_u32_e64 s[8:9], s14, v9
	v_subrev_co_u32_e64 v11, s[6:7], s14, v9
	s_nop 0
	v_cndmask_b32_e64 v14, 0, -1, s[8:9]
	v_cmp_eq_u32_e64 s[8:9], s15, v12
	v_subbrev_co_u32_e64 v8, s[6:7], 0, v8, s[6:7]
	s_nop 0
	v_cndmask_b32_e64 v13, v13, v14, s[8:9]
	v_cmp_le_u32_e32 vcc, s15, v3
	v_cmp_ne_u32_e64 s[6:7], 0, v13
	s_nop 0
	v_cndmask_b32_e64 v5, 0, -1, vcc
	v_cmp_le_u32_e32 vcc, s14, v4
	v_cndmask_b32_e64 v8, v12, v8, s[6:7]
	s_nop 0
	v_cndmask_b32_e64 v12, 0, -1, vcc
	v_cmp_eq_u32_e32 vcc, s15, v3
	s_nop 1
	v_cndmask_b32_e32 v5, v5, v12, vcc
	v_cmp_ne_u32_e32 vcc, 0, v5
	v_cndmask_b32_e64 v5, v9, v11, s[6:7]
	s_nop 0
	v_cndmask_b32_e32 v4, v4, v5, vcc
	v_cndmask_b32_e32 v3, v3, v8, vcc
	v_xor_b32_e32 v4, v4, v10
	v_xor_b32_e32 v3, v3, v10
	v_sub_co_u32_e32 v4, vcc, v4, v10
	s_nop 1
	v_subb_co_u32_e32 v5, vcc, v3, v10, vcc
.LBB59_7:
	s_or_saveexec_b64 s[6:7], s[12:13]
	s_load_dwordx2 s[44:45], s[0:1], 0xa8
	s_load_dwordx8 s[24:31], s[0:1], 0x88
	s_xor_b64 exec, exec, s[6:7]
	s_cbranch_execz .LBB59_9
; %bb.8:
	v_cvt_f32_u32_e32 v3, s10
	s_sub_i32 s8, 0, s10
	v_mov_b32_e32 v5, 0
	v_rcp_iflag_f32_e32 v3, v3
	s_nop 0
	v_mul_f32_e32 v3, 0x4f7ffffe, v3
	v_cvt_u32_f32_e32 v3, v3
	v_mul_lo_u32 v4, s8, v3
	v_mul_hi_u32 v4, v3, v4
	v_add_u32_e32 v3, v3, v4
	v_mul_hi_u32 v3, v6, v3
	v_mul_lo_u32 v3, v3, s10
	v_sub_u32_e32 v3, v6, v3
	v_subrev_u32_e32 v4, s10, v3
	v_cmp_le_u32_e32 vcc, s10, v3
	s_nop 1
	v_cndmask_b32_e32 v3, v3, v4, vcc
	v_subrev_u32_e32 v4, s10, v3
	v_cmp_le_u32_e32 vcc, s10, v3
	s_nop 1
	v_cndmask_b32_e32 v4, v3, v4, vcc
.LBB59_9:
	s_or_b64 exec, exec, s[6:7]
	s_load_dwordx2 s[46:47], s[0:1], 0x58
	s_load_dwordx2 s[48:49], s[0:1], 0x0
	v_or_b32_e32 v11, s5, v1
	v_mov_b32_e32 v10, 0
	v_cmp_ne_u64_e32 vcc, 0, v[10:11]
                                        ; implicit-def: $vgpr8_vgpr9
	s_and_saveexec_b64 s[6:7], vcc
	s_xor_b64 s[8:9], exec, s[6:7]
	s_cbranch_execz .LBB59_11
; %bb.10:
	s_ashr_i32 s10, s5, 31
	s_add_u32 s6, s2, s10
	s_mov_b32 s11, s10
	s_addc_u32 s7, s5, s10
	s_xor_b64 s[12:13], s[6:7], s[10:11]
	v_cvt_f32_u32_e32 v3, s12
	v_cvt_f32_u32_e32 v8, s13
	s_sub_u32 s5, 0, s12
	s_subb_u32 s11, 0, s13
	v_mov_b32_e32 v13, v10
	v_fmamk_f32 v3, v8, 0x4f800000, v3
	v_rcp_f32_e32 v3, v3
	s_nop 0
	v_mul_f32_e32 v3, 0x5f7ffffc, v3
	v_mul_f32_e32 v8, 0x2f800000, v3
	v_trunc_f32_e32 v8, v8
	v_fmamk_f32 v3, v8, 0xcf800000, v3
	v_cvt_u32_f32_e32 v8, v8
	v_cvt_u32_f32_e32 v3, v3
	v_readfirstlane_b32 s14, v8
	v_readfirstlane_b32 s6, v3
	s_mul_i32 s7, s5, s14
	s_mul_hi_u32 s16, s5, s6
	s_mul_i32 s15, s11, s6
	s_add_i32 s7, s16, s7
	s_add_i32 s7, s7, s15
	s_mul_i32 s17, s5, s6
	s_mul_i32 s16, s6, s7
	s_mul_hi_u32 s18, s6, s17
	s_mul_hi_u32 s15, s6, s7
	s_add_u32 s16, s18, s16
	s_addc_u32 s15, 0, s15
	s_mul_hi_u32 s19, s14, s17
	s_mul_i32 s17, s14, s17
	s_add_u32 s16, s16, s17
	s_mul_hi_u32 s18, s14, s7
	s_addc_u32 s15, s15, s19
	s_addc_u32 s16, s18, 0
	s_mul_i32 s7, s14, s7
	s_add_u32 s7, s15, s7
	s_addc_u32 s15, 0, s16
	s_add_u32 s16, s6, s7
	s_cselect_b64 s[6:7], -1, 0
	s_cmp_lg_u64 s[6:7], 0
	s_addc_u32 s14, s14, s15
	s_mul_i32 s6, s5, s14
	s_mul_hi_u32 s7, s5, s16
	s_add_i32 s6, s7, s6
	s_mul_i32 s11, s11, s16
	s_add_i32 s6, s6, s11
	s_mul_i32 s5, s5, s16
	s_mul_hi_u32 s11, s14, s5
	s_mul_i32 s15, s14, s5
	s_mul_i32 s18, s16, s6
	s_mul_hi_u32 s5, s16, s5
	s_mul_hi_u32 s17, s16, s6
	s_add_u32 s5, s5, s18
	s_addc_u32 s17, 0, s17
	s_add_u32 s5, s5, s15
	s_mul_hi_u32 s7, s14, s6
	s_addc_u32 s5, s17, s11
	s_addc_u32 s7, s7, 0
	s_mul_i32 s6, s14, s6
	s_add_u32 s5, s5, s6
	s_addc_u32 s11, 0, s7
	s_add_u32 s5, s16, s5
	s_cselect_b64 s[6:7], -1, 0
	v_mov_b32_e32 v3, v2
	s_cmp_lg_u64 s[6:7], 0
	v_lshl_add_u64 v[8:9], v[0:1], 0, v[2:3]
	s_addc_u32 s11, s14, s11
	v_xor_b32_e32 v16, v8, v2
	v_xor_b32_e32 v3, v9, v2
	v_mad_u64_u32 v[8:9], s[6:7], v16, s11, 0
	v_mul_hi_u32 v12, v16, s5
	v_lshl_add_u64 v[8:9], v[12:13], 0, v[8:9]
	v_mad_u64_u32 v[14:15], s[6:7], v3, s5, 0
	v_add_co_u32_e32 v8, vcc, v8, v14
	v_mad_u64_u32 v[12:13], s[6:7], v3, s11, 0
	s_nop 0
	v_addc_co_u32_e32 v8, vcc, v9, v15, vcc
	v_mov_b32_e32 v9, v10
	s_nop 0
	v_addc_co_u32_e32 v13, vcc, 0, v13, vcc
	v_lshl_add_u64 v[8:9], v[8:9], 0, v[12:13]
	v_mul_lo_u32 v12, s13, v8
	v_mul_lo_u32 v13, s12, v9
	v_mad_u64_u32 v[10:11], s[6:7], s12, v8, 0
	v_add3_u32 v14, v11, v13, v12
	v_sub_u32_e32 v11, v3, v14
	v_mov_b32_e32 v12, s13
	v_sub_co_u32_e32 v15, vcc, v16, v10
	v_xor_b32_e32 v2, s10, v2
	s_nop 0
	v_subb_co_u32_e64 v10, s[6:7], v11, v12, vcc
	v_subrev_co_u32_e64 v11, s[6:7], s12, v15
	v_subb_co_u32_e32 v3, vcc, v3, v14, vcc
	s_nop 0
	v_subbrev_co_u32_e64 v10, s[6:7], 0, v10, s[6:7]
	v_cmp_le_u32_e64 s[6:7], s13, v10
	v_cmp_le_u32_e32 vcc, s13, v3
	s_nop 0
	v_cndmask_b32_e64 v12, 0, -1, s[6:7]
	v_cmp_le_u32_e64 s[6:7], s12, v11
	s_nop 1
	v_cndmask_b32_e64 v11, 0, -1, s[6:7]
	v_cmp_eq_u32_e64 s[6:7], s13, v10
	s_nop 1
	v_cndmask_b32_e64 v16, v12, v11, s[6:7]
	v_lshl_add_u64 v[10:11], v[8:9], 0, 2
	v_lshl_add_u64 v[12:13], v[8:9], 0, 1
	v_cmp_ne_u32_e64 s[6:7], 0, v16
	s_nop 1
	v_cndmask_b32_e64 v11, v13, v11, s[6:7]
	v_cndmask_b32_e64 v13, 0, -1, vcc
	v_cmp_le_u32_e32 vcc, s12, v15
	s_nop 1
	v_cndmask_b32_e64 v14, 0, -1, vcc
	v_cmp_eq_u32_e32 vcc, s13, v3
	s_nop 1
	v_cndmask_b32_e32 v3, v13, v14, vcc
	v_cmp_ne_u32_e32 vcc, 0, v3
	s_nop 1
	v_cndmask_b32_e32 v3, v9, v11, vcc
	v_cndmask_b32_e64 v9, v12, v10, s[6:7]
	v_cndmask_b32_e32 v8, v8, v9, vcc
	v_xor_b32_e32 v8, v8, v2
	v_xor_b32_e32 v3, v3, v2
	v_sub_co_u32_e32 v8, vcc, v8, v2
	s_nop 1
	v_subb_co_u32_e32 v9, vcc, v3, v2, vcc
.LBB59_11:
	s_or_saveexec_b64 s[6:7], s[8:9]
	s_load_dwordx16 s[8:23], s[0:1], 0x18
	s_xor_b64 exec, exec, s[6:7]
	s_cbranch_execz .LBB59_13
; %bb.12:
	v_cvt_f32_u32_e32 v2, s2
	s_sub_i32 s5, 0, s2
	v_rcp_iflag_f32_e32 v2, v2
	s_nop 0
	v_mul_f32_e32 v2, 0x4f7ffffe, v2
	v_cvt_u32_f32_e32 v2, v2
	v_mul_lo_u32 v3, s5, v2
	v_mul_hi_u32 v3, v2, v3
	v_add_u32_e32 v2, v2, v3
	v_mul_hi_u32 v2, v0, v2
	v_mul_lo_u32 v3, v2, s2
	v_sub_u32_e32 v3, v0, v3
	v_add_u32_e32 v8, 1, v2
	v_subrev_u32_e32 v9, s2, v3
	v_cmp_le_u32_e32 vcc, s2, v3
	s_nop 1
	v_cndmask_b32_e32 v3, v3, v9, vcc
	v_cndmask_b32_e32 v2, v2, v8, vcc
	v_add_u32_e32 v8, 1, v2
	v_cmp_le_u32_e32 vcc, s2, v3
	v_mov_b32_e32 v9, 0
	s_nop 0
	v_cndmask_b32_e32 v8, v2, v8, vcc
.LBB59_13:
	s_or_b64 exec, exec, s[6:7]
	s_load_dwordx8 s[36:43], s[0:1], 0xb0
	v_mad_u64_u32 v[2:3], s[6:7], v6, s34, 0
	v_mul_lo_u32 v7, v7, s34
	v_mul_lo_u32 v10, v6, s35
	s_waitcnt lgkmcnt(0)
	s_sub_u32 s6, 0, s36
	s_subb_u32 s7, 0, s37
	s_sub_u32 s34, 0, s38
	s_subb_u32 s35, 0, s39
	s_sub_u32 s50, 0, s40
	s_subb_u32 s51, 0, s41
	v_cmp_gt_i64_e64 s[52:53], s[6:7], 0
	s_and_b64 s[52:53], s[52:53], exec
	s_cselect_b32 s2, s7, 0
	s_cselect_b32 s5, s6, 0
	v_cmp_gt_i64_e64 s[6:7], s[36:37], 0
	s_and_b64 s[6:7], s[6:7], exec
	v_cmp_gt_i64_e64 s[6:7], s[34:35], 0
	s_cselect_b32 s53, s37, 0
	s_cselect_b32 s52, s36, 0
	s_and_b64 s[6:7], s[6:7], exec
	v_add3_u32 v3, v3, v10, v7
	v_sub_co_u32_e32 v0, vcc, v0, v2
	v_cmp_gt_i64_e64 s[6:7], s[38:39], 0
	s_nop 0
	v_subb_co_u32_e32 v1, vcc, v1, v3, vcc
	s_cselect_b32 s33, s35, 0
	s_cselect_b32 s54, s34, 0
	s_and_b64 s[6:7], s[6:7], exec
	v_cmp_gt_i64_e64 s[6:7], s[50:51], 0
	v_mov_b32_e32 v2, s37
	v_subrev_co_u32_e32 v3, vcc, s36, v0
	s_cselect_b32 s35, s39, 0
	s_cselect_b32 s34, s38, 0
	s_and_b64 s[6:7], s[6:7], exec
	v_subb_co_u32_e32 v2, vcc, v1, v2, vcc
	v_cmp_gt_i64_e64 s[6:7], s[40:41], 0
	v_ashrrev_i32_e32 v6, 31, v2
	s_cselect_b32 s55, s51, 0
	s_cselect_b32 s56, s50, 0
	s_and_b64 s[6:7], s[6:7], exec
	v_xor_b32_e32 v7, v2, v6
	v_xor_b32_e32 v2, v3, v6
	s_cselect_b32 s7, s41, 0
	s_cselect_b32 s6, s40, 0
	v_sub_co_u32_e32 v2, vcc, v2, v6
	s_add_u32 s50, s36, s12
	s_nop 0
	v_subb_co_u32_e32 v3, vcc, v7, v6, vcc
	s_addc_u32 s51, s37, s13
	v_mov_b32_e32 v7, s51
	v_subrev_co_u32_e32 v6, vcc, s50, v0
	s_lshl_b64 s[36:37], s[36:37], 1
	s_nop 0
	v_subb_co_u32_e32 v7, vcc, v1, v7, vcc
	s_not_b64 s[50:51], s[52:53]
	v_lshl_add_u64 v[6:7], v[6:7], 0, 1
	s_add_u32 s36, s36, s50
	v_ashrrev_i32_e32 v10, 31, v7
	s_addc_u32 s37, s37, s51
	v_xor_b32_e32 v6, v6, v10
	s_add_u32 s5, s36, s5
	v_xor_b32_e32 v7, v7, v10
	v_sub_co_u32_e32 v6, vcc, v6, v10
	s_addc_u32 s2, s37, s2
	s_nop 0
	v_subb_co_u32_e32 v7, vcc, v7, v10, vcc
	s_add_u32 s5, s5, s12
	s_addc_u32 s2, s2, s13
	v_lshl_add_u64 v[6:7], v[0:1], 0, v[6:7]
	v_mov_b32_e32 v10, s2
	v_sub_co_u32_e32 v6, vcc, s5, v6
	s_add_u32 s2, s38, s10
	s_nop 0
	v_subb_co_u32_e32 v7, vcc, v10, v7, vcc
	v_lshl_add_u64 v[2:3], v[6:7], 0, v[2:3]
	v_mov_b32_e32 v6, s39
	v_subrev_co_u32_e32 v7, vcc, s38, v4
	s_addc_u32 s5, s39, s11
	s_nop 0
	v_subb_co_u32_e32 v6, vcc, v5, v6, vcc
	v_ashrrev_i32_e32 v10, 31, v6
	v_xor_b32_e32 v11, v6, v10
	v_xor_b32_e32 v6, v7, v10
	v_sub_co_u32_e32 v6, vcc, v6, v10
	s_lshl_b64 s[12:13], s[38:39], 1
	s_nop 0
	v_subb_co_u32_e32 v7, vcc, v11, v10, vcc
	v_mov_b32_e32 v11, s5
	v_subrev_co_u32_e32 v10, vcc, s2, v4
	s_not_b64 s[34:35], s[34:35]
	s_nop 0
	v_subb_co_u32_e32 v11, vcc, v5, v11, vcc
	v_lshl_add_u64 v[10:11], v[10:11], 0, 1
	s_add_u32 s2, s12, s34
	v_ashrrev_i32_e32 v12, 31, v11
	s_addc_u32 s5, s13, s35
	v_xor_b32_e32 v10, v10, v12
	s_add_u32 s2, s2, s54
	v_xor_b32_e32 v11, v11, v12
	v_sub_co_u32_e32 v10, vcc, v10, v12
	s_addc_u32 s5, s5, s33
	s_nop 0
	v_subb_co_u32_e32 v11, vcc, v11, v12, vcc
	s_add_u32 s2, s2, s10
	s_addc_u32 s5, s5, s11
	v_lshl_add_u64 v[10:11], v[4:5], 0, v[10:11]
	v_mov_b32_e32 v12, s5
	v_sub_co_u32_e32 v10, vcc, s2, v10
	s_add_u32 s2, s40, s8
	s_nop 0
	v_subb_co_u32_e32 v11, vcc, v12, v11, vcc
	v_lshl_add_u64 v[6:7], v[10:11], 0, v[6:7]
	v_mov_b32_e32 v10, s41
	v_subrev_co_u32_e32 v11, vcc, s40, v8
	s_addc_u32 s5, s41, s9
	s_nop 0
	v_subb_co_u32_e32 v10, vcc, v9, v10, vcc
	v_ashrrev_i32_e32 v12, 31, v10
	v_xor_b32_e32 v13, v10, v12
	v_xor_b32_e32 v10, v11, v12
	v_sub_co_u32_e32 v10, vcc, v10, v12
	s_lshl_b64 s[10:11], s[40:41], 1
	s_nop 0
	v_subb_co_u32_e32 v11, vcc, v13, v12, vcc
	s_not_b64 s[6:7], s[6:7]
	v_mov_b32_e32 v13, s5
	v_subrev_co_u32_e32 v12, vcc, s2, v8
	s_add_u32 s2, s10, s6
	s_nop 0
	v_subb_co_u32_e32 v13, vcc, v9, v13, vcc
	s_addc_u32 s5, s11, s7
	v_lshl_add_u64 v[12:13], v[12:13], 0, 1
	s_add_u32 s2, s2, s56
	s_load_dwordx2 s[0:1], s[0:1], 0xd0
	v_ashrrev_i32_e32 v14, 31, v13
	s_addc_u32 s5, s5, s55
	v_xor_b32_e32 v12, v12, v14
	s_add_u32 s2, s2, s8
	v_xor_b32_e32 v13, v13, v14
	v_sub_co_u32_e32 v12, vcc, v12, v14
	s_addc_u32 s5, s5, s9
	s_nop 0
	v_subb_co_u32_e32 v13, vcc, v13, v14, vcc
	v_mov_b32_e32 v14, s5
	s_add_u32 s5, s42, s3
	s_addc_u32 s6, s43, 0
	s_waitcnt lgkmcnt(0)
	s_add_u32 s4, s0, s4
	s_addc_u32 s7, s1, 0
	s_mul_i32 s0, s14, s7
	s_mul_hi_u32 s1, s14, s4
	s_add_i32 s0, s1, s0
	s_mul_i32 s1, s15, s4
	s_add_i32 s1, s0, s1
	s_mul_i32 s0, s14, s4
	v_lshl_add_u64 v[12:13], v[8:9], 0, v[12:13]
	s_lshl_b64 s[0:1], s[0:1], 2
	v_sub_co_u32_e32 v12, vcc, s2, v12
	s_add_u32 s2, s48, s0
	s_addc_u32 s3, s49, s1
	s_mul_i32 s0, s16, s6
	s_mul_hi_u32 s1, s16, s5
	s_add_i32 s0, s1, s0
	s_mul_i32 s1, s17, s5
	s_add_i32 s1, s0, s1
	s_mul_i32 s0, s16, s5
	v_subb_co_u32_e32 v13, vcc, v14, v13, vcc
	s_lshl_b64 s[0:1], s[0:1], 2
	v_lshl_add_u64 v[10:11], v[12:13], 0, v[10:11]
	s_add_u32 s0, s2, s0
	s_addc_u32 s1, s3, s1
	v_mul_lo_u32 v12, v11, s18
	v_mul_lo_u32 v13, v10, s19
	v_mad_u64_u32 v[10:11], s[2:3], v10, s18, 0
	v_add3_u32 v11, v11, v13, v12
	v_lshl_add_u64 v[10:11], v[10:11], 2, s[0:1]
	v_mul_lo_u32 v12, v7, s20
	v_mul_lo_u32 v13, v6, s21
	v_mad_u64_u32 v[6:7], s[0:1], v6, s20, 0
	v_add3_u32 v7, v7, v13, v12
	v_lshl_add_u64 v[6:7], v[6:7], 2, v[10:11]
	;; [unrolled: 5-line block ×3, first 2 shown]
	global_load_dword v6, v[2:3], off
	s_mul_i32 s0, s24, s7
	s_mul_hi_u32 s1, s24, s4
	s_add_i32 s0, s1, s0
	s_mul_i32 s1, s25, s4
	s_add_i32 s1, s0, s1
	s_mul_i32 s0, s24, s4
	s_lshl_b64 s[0:1], s[0:1], 2
	s_add_u32 s2, s46, s0
	s_addc_u32 s3, s47, s1
	s_mul_i32 s0, s26, s6
	s_mul_hi_u32 s1, s26, s5
	s_add_i32 s0, s1, s0
	s_mul_i32 s1, s27, s5
	s_add_i32 s1, s0, s1
	s_mul_i32 s0, s26, s5
	s_lshl_b64 s[0:1], s[0:1], 2
	s_add_u32 s0, s2, s0
	s_addc_u32 s1, s3, s1
	v_mul_lo_u32 v7, v9, s28
	v_mul_lo_u32 v9, v8, s29
	v_mad_u64_u32 v[2:3], s[2:3], v8, s28, 0
	v_add3_u32 v3, v3, v9, v7
	v_lshl_add_u64 v[2:3], v[2:3], 2, s[0:1]
	v_mul_lo_u32 v7, v5, s30
	v_mul_lo_u32 v8, v4, s31
	v_mad_u64_u32 v[4:5], s[0:1], v4, s30, 0
	v_add3_u32 v5, v5, v8, v7
	v_lshl_add_u64 v[2:3], v[4:5], 2, v[2:3]
	;; [unrolled: 5-line block ×3, first 2 shown]
	s_waitcnt vmcnt(0)
	global_store_dword v[0:1], v6, off
.LBB59_14:
	s_endpgm
	.section	.rodata,"a",@progbits
	.p2align	6, 0x0
	.amdhsa_kernel _ZN2at6native12_GLOBAL__N_127reflection_pad3d_out_kernelIiEEvN5torch10headeronly6detail27GenericPackedTensorAccessorINS5_14TensorAccessorIN3c108ArrayRefIlEEKT_Lm4ENS4_16DefaultPtrTraitsElEENS_6detail16IndexBoundsCheckILm5ElEESC_Lm5ESD_lEENS6_INS7_ISA_SB_Lm4ESD_lEESH_SB_Lm5ESD_lEElllll
		.amdhsa_group_segment_fixed_size 0
		.amdhsa_private_segment_fixed_size 0
		.amdhsa_kernarg_size 472
		.amdhsa_user_sgpr_count 2
		.amdhsa_user_sgpr_dispatch_ptr 0
		.amdhsa_user_sgpr_queue_ptr 0
		.amdhsa_user_sgpr_kernarg_segment_ptr 1
		.amdhsa_user_sgpr_dispatch_id 0
		.amdhsa_user_sgpr_kernarg_preload_length 0
		.amdhsa_user_sgpr_kernarg_preload_offset 0
		.amdhsa_user_sgpr_private_segment_size 0
		.amdhsa_uses_dynamic_stack 0
		.amdhsa_enable_private_segment 0
		.amdhsa_system_sgpr_workgroup_id_x 1
		.amdhsa_system_sgpr_workgroup_id_y 1
		.amdhsa_system_sgpr_workgroup_id_z 1
		.amdhsa_system_sgpr_workgroup_info 0
		.amdhsa_system_vgpr_workitem_id 0
		.amdhsa_next_free_vgpr 17
		.amdhsa_next_free_sgpr 57
		.amdhsa_accum_offset 20
		.amdhsa_reserve_vcc 1
		.amdhsa_float_round_mode_32 0
		.amdhsa_float_round_mode_16_64 0
		.amdhsa_float_denorm_mode_32 3
		.amdhsa_float_denorm_mode_16_64 3
		.amdhsa_dx10_clamp 1
		.amdhsa_ieee_mode 1
		.amdhsa_fp16_overflow 0
		.amdhsa_tg_split 0
		.amdhsa_exception_fp_ieee_invalid_op 0
		.amdhsa_exception_fp_denorm_src 0
		.amdhsa_exception_fp_ieee_div_zero 0
		.amdhsa_exception_fp_ieee_overflow 0
		.amdhsa_exception_fp_ieee_underflow 0
		.amdhsa_exception_fp_ieee_inexact 0
		.amdhsa_exception_int_div_zero 0
	.end_amdhsa_kernel
	.section	.text._ZN2at6native12_GLOBAL__N_127reflection_pad3d_out_kernelIiEEvN5torch10headeronly6detail27GenericPackedTensorAccessorINS5_14TensorAccessorIN3c108ArrayRefIlEEKT_Lm4ENS4_16DefaultPtrTraitsElEENS_6detail16IndexBoundsCheckILm5ElEESC_Lm5ESD_lEENS6_INS7_ISA_SB_Lm4ESD_lEESH_SB_Lm5ESD_lEElllll,"axG",@progbits,_ZN2at6native12_GLOBAL__N_127reflection_pad3d_out_kernelIiEEvN5torch10headeronly6detail27GenericPackedTensorAccessorINS5_14TensorAccessorIN3c108ArrayRefIlEEKT_Lm4ENS4_16DefaultPtrTraitsElEENS_6detail16IndexBoundsCheckILm5ElEESC_Lm5ESD_lEENS6_INS7_ISA_SB_Lm4ESD_lEESH_SB_Lm5ESD_lEElllll,comdat
.Lfunc_end59:
	.size	_ZN2at6native12_GLOBAL__N_127reflection_pad3d_out_kernelIiEEvN5torch10headeronly6detail27GenericPackedTensorAccessorINS5_14TensorAccessorIN3c108ArrayRefIlEEKT_Lm4ENS4_16DefaultPtrTraitsElEENS_6detail16IndexBoundsCheckILm5ElEESC_Lm5ESD_lEENS6_INS7_ISA_SB_Lm4ESD_lEESH_SB_Lm5ESD_lEElllll, .Lfunc_end59-_ZN2at6native12_GLOBAL__N_127reflection_pad3d_out_kernelIiEEvN5torch10headeronly6detail27GenericPackedTensorAccessorINS5_14TensorAccessorIN3c108ArrayRefIlEEKT_Lm4ENS4_16DefaultPtrTraitsElEENS_6detail16IndexBoundsCheckILm5ElEESC_Lm5ESD_lEENS6_INS7_ISA_SB_Lm4ESD_lEESH_SB_Lm5ESD_lEElllll
                                        ; -- End function
	.set _ZN2at6native12_GLOBAL__N_127reflection_pad3d_out_kernelIiEEvN5torch10headeronly6detail27GenericPackedTensorAccessorINS5_14TensorAccessorIN3c108ArrayRefIlEEKT_Lm4ENS4_16DefaultPtrTraitsElEENS_6detail16IndexBoundsCheckILm5ElEESC_Lm5ESD_lEENS6_INS7_ISA_SB_Lm4ESD_lEESH_SB_Lm5ESD_lEElllll.num_vgpr, 17
	.set _ZN2at6native12_GLOBAL__N_127reflection_pad3d_out_kernelIiEEvN5torch10headeronly6detail27GenericPackedTensorAccessorINS5_14TensorAccessorIN3c108ArrayRefIlEEKT_Lm4ENS4_16DefaultPtrTraitsElEENS_6detail16IndexBoundsCheckILm5ElEESC_Lm5ESD_lEENS6_INS7_ISA_SB_Lm4ESD_lEESH_SB_Lm5ESD_lEElllll.num_agpr, 0
	.set _ZN2at6native12_GLOBAL__N_127reflection_pad3d_out_kernelIiEEvN5torch10headeronly6detail27GenericPackedTensorAccessorINS5_14TensorAccessorIN3c108ArrayRefIlEEKT_Lm4ENS4_16DefaultPtrTraitsElEENS_6detail16IndexBoundsCheckILm5ElEESC_Lm5ESD_lEENS6_INS7_ISA_SB_Lm4ESD_lEESH_SB_Lm5ESD_lEElllll.numbered_sgpr, 57
	.set _ZN2at6native12_GLOBAL__N_127reflection_pad3d_out_kernelIiEEvN5torch10headeronly6detail27GenericPackedTensorAccessorINS5_14TensorAccessorIN3c108ArrayRefIlEEKT_Lm4ENS4_16DefaultPtrTraitsElEENS_6detail16IndexBoundsCheckILm5ElEESC_Lm5ESD_lEENS6_INS7_ISA_SB_Lm4ESD_lEESH_SB_Lm5ESD_lEElllll.num_named_barrier, 0
	.set _ZN2at6native12_GLOBAL__N_127reflection_pad3d_out_kernelIiEEvN5torch10headeronly6detail27GenericPackedTensorAccessorINS5_14TensorAccessorIN3c108ArrayRefIlEEKT_Lm4ENS4_16DefaultPtrTraitsElEENS_6detail16IndexBoundsCheckILm5ElEESC_Lm5ESD_lEENS6_INS7_ISA_SB_Lm4ESD_lEESH_SB_Lm5ESD_lEElllll.private_seg_size, 0
	.set _ZN2at6native12_GLOBAL__N_127reflection_pad3d_out_kernelIiEEvN5torch10headeronly6detail27GenericPackedTensorAccessorINS5_14TensorAccessorIN3c108ArrayRefIlEEKT_Lm4ENS4_16DefaultPtrTraitsElEENS_6detail16IndexBoundsCheckILm5ElEESC_Lm5ESD_lEENS6_INS7_ISA_SB_Lm4ESD_lEESH_SB_Lm5ESD_lEElllll.uses_vcc, 1
	.set _ZN2at6native12_GLOBAL__N_127reflection_pad3d_out_kernelIiEEvN5torch10headeronly6detail27GenericPackedTensorAccessorINS5_14TensorAccessorIN3c108ArrayRefIlEEKT_Lm4ENS4_16DefaultPtrTraitsElEENS_6detail16IndexBoundsCheckILm5ElEESC_Lm5ESD_lEENS6_INS7_ISA_SB_Lm4ESD_lEESH_SB_Lm5ESD_lEElllll.uses_flat_scratch, 0
	.set _ZN2at6native12_GLOBAL__N_127reflection_pad3d_out_kernelIiEEvN5torch10headeronly6detail27GenericPackedTensorAccessorINS5_14TensorAccessorIN3c108ArrayRefIlEEKT_Lm4ENS4_16DefaultPtrTraitsElEENS_6detail16IndexBoundsCheckILm5ElEESC_Lm5ESD_lEENS6_INS7_ISA_SB_Lm4ESD_lEESH_SB_Lm5ESD_lEElllll.has_dyn_sized_stack, 0
	.set _ZN2at6native12_GLOBAL__N_127reflection_pad3d_out_kernelIiEEvN5torch10headeronly6detail27GenericPackedTensorAccessorINS5_14TensorAccessorIN3c108ArrayRefIlEEKT_Lm4ENS4_16DefaultPtrTraitsElEENS_6detail16IndexBoundsCheckILm5ElEESC_Lm5ESD_lEENS6_INS7_ISA_SB_Lm4ESD_lEESH_SB_Lm5ESD_lEElllll.has_recursion, 0
	.set _ZN2at6native12_GLOBAL__N_127reflection_pad3d_out_kernelIiEEvN5torch10headeronly6detail27GenericPackedTensorAccessorINS5_14TensorAccessorIN3c108ArrayRefIlEEKT_Lm4ENS4_16DefaultPtrTraitsElEENS_6detail16IndexBoundsCheckILm5ElEESC_Lm5ESD_lEENS6_INS7_ISA_SB_Lm4ESD_lEESH_SB_Lm5ESD_lEElllll.has_indirect_call, 0
	.section	.AMDGPU.csdata,"",@progbits
; Kernel info:
; codeLenInByte = 3652
; TotalNumSgprs: 63
; NumVgprs: 17
; NumAgprs: 0
; TotalNumVgprs: 17
; ScratchSize: 0
; MemoryBound: 0
; FloatMode: 240
; IeeeMode: 1
; LDSByteSize: 0 bytes/workgroup (compile time only)
; SGPRBlocks: 7
; VGPRBlocks: 2
; NumSGPRsForWavesPerEU: 63
; NumVGPRsForWavesPerEU: 17
; AccumOffset: 20
; Occupancy: 8
; WaveLimiterHint : 0
; COMPUTE_PGM_RSRC2:SCRATCH_EN: 0
; COMPUTE_PGM_RSRC2:USER_SGPR: 2
; COMPUTE_PGM_RSRC2:TRAP_HANDLER: 0
; COMPUTE_PGM_RSRC2:TGID_X_EN: 1
; COMPUTE_PGM_RSRC2:TGID_Y_EN: 1
; COMPUTE_PGM_RSRC2:TGID_Z_EN: 1
; COMPUTE_PGM_RSRC2:TIDIG_COMP_CNT: 0
; COMPUTE_PGM_RSRC3_GFX90A:ACCUM_OFFSET: 4
; COMPUTE_PGM_RSRC3_GFX90A:TG_SPLIT: 0
	.section	.text._ZN2at6native12_GLOBAL__N_127reflection_pad3d_out_kernelIlEEvN5torch10headeronly6detail27GenericPackedTensorAccessorINS5_14TensorAccessorIN3c108ArrayRefIlEEKT_Lm4ENS4_16DefaultPtrTraitsElEENS_6detail16IndexBoundsCheckILm5ElEESC_Lm5ESD_lEENS6_INS7_ISA_SB_Lm4ESD_lEESH_SB_Lm5ESD_lEElllll,"axG",@progbits,_ZN2at6native12_GLOBAL__N_127reflection_pad3d_out_kernelIlEEvN5torch10headeronly6detail27GenericPackedTensorAccessorINS5_14TensorAccessorIN3c108ArrayRefIlEEKT_Lm4ENS4_16DefaultPtrTraitsElEENS_6detail16IndexBoundsCheckILm5ElEESC_Lm5ESD_lEENS6_INS7_ISA_SB_Lm4ESD_lEESH_SB_Lm5ESD_lEElllll,comdat
	.globl	_ZN2at6native12_GLOBAL__N_127reflection_pad3d_out_kernelIlEEvN5torch10headeronly6detail27GenericPackedTensorAccessorINS5_14TensorAccessorIN3c108ArrayRefIlEEKT_Lm4ENS4_16DefaultPtrTraitsElEENS_6detail16IndexBoundsCheckILm5ElEESC_Lm5ESD_lEENS6_INS7_ISA_SB_Lm4ESD_lEESH_SB_Lm5ESD_lEElllll ; -- Begin function _ZN2at6native12_GLOBAL__N_127reflection_pad3d_out_kernelIlEEvN5torch10headeronly6detail27GenericPackedTensorAccessorINS5_14TensorAccessorIN3c108ArrayRefIlEEKT_Lm4ENS4_16DefaultPtrTraitsElEENS_6detail16IndexBoundsCheckILm5ElEESC_Lm5ESD_lEENS6_INS7_ISA_SB_Lm4ESD_lEESH_SB_Lm5ESD_lEElllll
	.p2align	8
	.type	_ZN2at6native12_GLOBAL__N_127reflection_pad3d_out_kernelIlEEvN5torch10headeronly6detail27GenericPackedTensorAccessorINS5_14TensorAccessorIN3c108ArrayRefIlEEKT_Lm4ENS4_16DefaultPtrTraitsElEENS_6detail16IndexBoundsCheckILm5ElEESC_Lm5ESD_lEENS6_INS7_ISA_SB_Lm4ESD_lEESH_SB_Lm5ESD_lEElllll,@function
_ZN2at6native12_GLOBAL__N_127reflection_pad3d_out_kernelIlEEvN5torch10headeronly6detail27GenericPackedTensorAccessorINS5_14TensorAccessorIN3c108ArrayRefIlEEKT_Lm4ENS4_16DefaultPtrTraitsElEENS_6detail16IndexBoundsCheckILm5ElEESC_Lm5ESD_lEENS6_INS7_ISA_SB_Lm4ESD_lEESH_SB_Lm5ESD_lEElllll: ; @_ZN2at6native12_GLOBAL__N_127reflection_pad3d_out_kernelIlEEvN5torch10headeronly6detail27GenericPackedTensorAccessorINS5_14TensorAccessorIN3c108ArrayRefIlEEKT_Lm4ENS4_16DefaultPtrTraitsElEENS_6detail16IndexBoundsCheckILm5ElEESC_Lm5ESD_lEENS6_INS7_ISA_SB_Lm4ESD_lEESH_SB_Lm5ESD_lEElllll
; %bb.0:
	s_load_dword s5, s[0:1], 0xe4
	s_load_dwordx4 s[8:11], s[0:1], 0x70
	s_load_dwordx2 s[34:35], s[0:1], 0x80
	v_mov_b32_e32 v2, 0
	v_mov_b32_e32 v1, v2
	s_waitcnt lgkmcnt(0)
	s_and_b32 s5, s5, 0xffff
	v_mov_b32_e32 v3, s2
	v_mad_u64_u32 v[0:1], s[6:7], s5, v3, v[0:1]
	s_mul_i32 s2, s34, s11
	s_mul_hi_u32 s5, s34, s10
	s_add_i32 s5, s5, s2
	s_mul_i32 s2, s35, s10
	s_add_i32 s5, s5, s2
	s_mul_i32 s2, s34, s10
	s_mul_i32 s6, s2, s9
	s_mul_hi_u32 s7, s2, s8
	s_add_i32 s6, s7, s6
	s_mul_i32 s7, s5, s8
	s_add_i32 s7, s6, s7
	s_mul_i32 s6, s2, s8
	v_cmp_gt_i64_e32 vcc, s[6:7], v[0:1]
	s_and_saveexec_b64 s[6:7], vcc
	s_cbranch_execz .LBB60_14
; %bb.1:
	v_or_b32_e32 v3, s35, v1
	v_cmp_ne_u64_e32 vcc, 0, v[2:3]
	v_ashrrev_i32_e32 v2, 31, v1
                                        ; implicit-def: $vgpr6_vgpr7
	s_and_saveexec_b64 s[6:7], vcc
	s_xor_b64 s[8:9], exec, s[6:7]
	s_cbranch_execz .LBB60_3
; %bb.2:
	s_ashr_i32 s12, s35, 31
	s_add_u32 s6, s34, s12
	s_mov_b32 s13, s12
	s_addc_u32 s7, s35, s12
	s_xor_b64 s[14:15], s[6:7], s[12:13]
	v_cvt_f32_u32_e32 v3, s14
	v_cvt_f32_u32_e32 v4, s15
	s_sub_u32 s13, 0, s14
	s_subb_u32 s16, 0, s15
	v_mov_b32_e32 v7, 0
	v_fmamk_f32 v3, v4, 0x4f800000, v3
	v_rcp_f32_e32 v3, v3
	s_nop 0
	v_mul_f32_e32 v3, 0x5f7ffffc, v3
	v_mul_f32_e32 v4, 0x2f800000, v3
	v_trunc_f32_e32 v4, v4
	v_fmamk_f32 v3, v4, 0xcf800000, v3
	v_cvt_u32_f32_e32 v4, v4
	v_cvt_u32_f32_e32 v3, v3
	v_readfirstlane_b32 s17, v4
	v_readfirstlane_b32 s6, v3
	s_mul_i32 s7, s13, s17
	s_mul_hi_u32 s19, s13, s6
	s_mul_i32 s18, s16, s6
	s_add_i32 s7, s19, s7
	s_add_i32 s7, s7, s18
	s_mul_i32 s20, s13, s6
	s_mul_i32 s19, s6, s7
	s_mul_hi_u32 s21, s6, s20
	s_mul_hi_u32 s18, s6, s7
	s_add_u32 s19, s21, s19
	s_addc_u32 s18, 0, s18
	s_mul_hi_u32 s22, s17, s20
	s_mul_i32 s20, s17, s20
	s_add_u32 s19, s19, s20
	s_mul_hi_u32 s21, s17, s7
	s_addc_u32 s18, s18, s22
	s_addc_u32 s19, s21, 0
	s_mul_i32 s7, s17, s7
	s_add_u32 s7, s18, s7
	s_addc_u32 s18, 0, s19
	s_add_u32 s19, s6, s7
	s_cselect_b64 s[6:7], -1, 0
	s_cmp_lg_u64 s[6:7], 0
	s_addc_u32 s17, s17, s18
	s_mul_i32 s6, s13, s17
	s_mul_hi_u32 s7, s13, s19
	s_add_i32 s6, s7, s6
	s_mul_i32 s16, s16, s19
	s_add_i32 s6, s6, s16
	s_mul_i32 s13, s13, s19
	s_mul_hi_u32 s16, s17, s13
	s_mul_i32 s18, s17, s13
	s_mul_i32 s21, s19, s6
	s_mul_hi_u32 s13, s19, s13
	s_mul_hi_u32 s20, s19, s6
	s_add_u32 s13, s13, s21
	s_addc_u32 s20, 0, s20
	s_add_u32 s13, s13, s18
	s_mul_hi_u32 s7, s17, s6
	s_addc_u32 s13, s20, s16
	s_addc_u32 s7, s7, 0
	s_mul_i32 s6, s17, s6
	s_add_u32 s6, s13, s6
	s_addc_u32 s13, 0, s7
	s_add_u32 s16, s19, s6
	s_cselect_b64 s[6:7], -1, 0
	v_mov_b32_e32 v3, v2
	s_cmp_lg_u64 s[6:7], 0
	v_lshl_add_u64 v[4:5], v[0:1], 0, v[2:3]
	s_addc_u32 s13, s17, s13
	v_xor_b32_e32 v12, v4, v2
	v_xor_b32_e32 v3, v5, v2
	v_mad_u64_u32 v[4:5], s[6:7], v12, s13, 0
	v_mul_hi_u32 v6, v12, s16
	v_lshl_add_u64 v[4:5], v[6:7], 0, v[4:5]
	v_mad_u64_u32 v[10:11], s[6:7], v3, s16, 0
	v_add_co_u32_e32 v4, vcc, v4, v10
	v_mad_u64_u32 v[8:9], s[6:7], v3, s13, 0
	s_nop 0
	v_addc_co_u32_e32 v6, vcc, v5, v11, vcc
	s_nop 1
	v_addc_co_u32_e32 v9, vcc, 0, v9, vcc
	v_lshl_add_u64 v[4:5], v[6:7], 0, v[8:9]
	v_mul_lo_u32 v8, s15, v4
	v_mul_lo_u32 v9, s14, v5
	v_mad_u64_u32 v[6:7], s[6:7], s14, v4, 0
	v_add3_u32 v10, v7, v9, v8
	v_sub_u32_e32 v7, v3, v10
	v_mov_b32_e32 v8, s15
	v_sub_co_u32_e32 v11, vcc, v12, v6
	s_nop 1
	v_subb_co_u32_e64 v6, s[6:7], v7, v8, vcc
	v_subrev_co_u32_e64 v7, s[6:7], s14, v11
	v_subb_co_u32_e32 v3, vcc, v3, v10, vcc
	s_nop 0
	v_subbrev_co_u32_e64 v6, s[6:7], 0, v6, s[6:7]
	v_cmp_le_u32_e64 s[6:7], s15, v6
	v_cmp_le_u32_e32 vcc, s15, v3
	s_nop 0
	v_cndmask_b32_e64 v8, 0, -1, s[6:7]
	v_cmp_le_u32_e64 s[6:7], s14, v7
	s_nop 1
	v_cndmask_b32_e64 v7, 0, -1, s[6:7]
	v_cmp_eq_u32_e64 s[6:7], s15, v6
	s_nop 1
	v_cndmask_b32_e64 v12, v8, v7, s[6:7]
	v_lshl_add_u64 v[6:7], v[4:5], 0, 2
	v_lshl_add_u64 v[8:9], v[4:5], 0, 1
	v_cmp_ne_u32_e64 s[6:7], 0, v12
	s_nop 1
	v_cndmask_b32_e64 v7, v9, v7, s[6:7]
	v_cndmask_b32_e64 v9, 0, -1, vcc
	v_cmp_le_u32_e32 vcc, s14, v11
	s_nop 1
	v_cndmask_b32_e64 v10, 0, -1, vcc
	v_cmp_eq_u32_e32 vcc, s15, v3
	s_nop 1
	v_cndmask_b32_e32 v3, v9, v10, vcc
	v_cmp_ne_u32_e32 vcc, 0, v3
	s_nop 1
	v_cndmask_b32_e32 v3, v5, v7, vcc
	v_cndmask_b32_e64 v5, v8, v6, s[6:7]
	v_cndmask_b32_e32 v4, v4, v5, vcc
	v_xor_b32_e32 v5, s12, v2
	v_xor_b32_e32 v4, v4, v5
	;; [unrolled: 1-line block ×3, first 2 shown]
	v_sub_co_u32_e32 v6, vcc, v4, v5
	s_nop 1
	v_subb_co_u32_e32 v7, vcc, v3, v5, vcc
.LBB60_3:
	s_andn2_saveexec_b64 s[6:7], s[8:9]
	s_cbranch_execz .LBB60_5
; %bb.4:
	v_cvt_f32_u32_e32 v3, s34
	s_sub_i32 s8, 0, s34
	v_mov_b32_e32 v7, 0
	v_rcp_iflag_f32_e32 v3, v3
	s_nop 0
	v_mul_f32_e32 v3, 0x4f7ffffe, v3
	v_cvt_u32_f32_e32 v3, v3
	v_mul_lo_u32 v4, s8, v3
	v_mul_hi_u32 v4, v3, v4
	v_add_u32_e32 v3, v3, v4
	v_mul_hi_u32 v3, v0, v3
	v_mul_lo_u32 v4, v3, s34
	v_sub_u32_e32 v4, v0, v4
	v_add_u32_e32 v5, 1, v3
	v_subrev_u32_e32 v6, s34, v4
	v_cmp_le_u32_e32 vcc, s34, v4
	s_nop 1
	v_cndmask_b32_e32 v4, v4, v6, vcc
	v_cndmask_b32_e32 v3, v3, v5, vcc
	v_add_u32_e32 v5, 1, v3
	v_cmp_le_u32_e32 vcc, s34, v4
	s_nop 1
	v_cndmask_b32_e32 v6, v3, v5, vcc
.LBB60_5:
	s_or_b64 exec, exec, s[6:7]
	v_or_b32_e32 v9, s11, v7
	v_mov_b32_e32 v8, 0
	v_cmp_ne_u64_e32 vcc, 0, v[8:9]
                                        ; implicit-def: $vgpr4_vgpr5
	s_and_saveexec_b64 s[6:7], vcc
	s_xor_b64 s[12:13], exec, s[6:7]
	s_cbranch_execz .LBB60_7
; %bb.6:
	s_ashr_i32 s6, s11, 31
	s_add_u32 s8, s10, s6
	s_mov_b32 s7, s6
	s_addc_u32 s9, s11, s6
	s_xor_b64 s[14:15], s[8:9], s[6:7]
	v_cvt_f32_u32_e32 v3, s14
	v_cvt_f32_u32_e32 v4, s15
	s_sub_u32 s8, 0, s14
	s_subb_u32 s9, 0, s15
	v_ashrrev_i32_e32 v10, 31, v7
	v_fmamk_f32 v3, v4, 0x4f800000, v3
	v_rcp_f32_e32 v3, v3
	v_mov_b32_e32 v11, v10
	v_mov_b32_e32 v13, v8
	v_mul_f32_e32 v3, 0x5f7ffffc, v3
	v_mul_f32_e32 v4, 0x2f800000, v3
	v_trunc_f32_e32 v4, v4
	v_fmamk_f32 v3, v4, 0xcf800000, v3
	v_cvt_u32_f32_e32 v4, v4
	v_cvt_u32_f32_e32 v3, v3
	v_readfirstlane_b32 s11, v4
	v_readfirstlane_b32 s6, v3
	s_mul_i32 s7, s8, s11
	s_mul_hi_u32 s17, s8, s6
	s_mul_i32 s16, s9, s6
	s_add_i32 s7, s17, s7
	s_add_i32 s7, s7, s16
	s_mul_i32 s18, s8, s6
	s_mul_i32 s17, s6, s7
	s_mul_hi_u32 s19, s6, s18
	s_mul_hi_u32 s16, s6, s7
	s_add_u32 s17, s19, s17
	s_addc_u32 s16, 0, s16
	s_mul_hi_u32 s20, s11, s18
	s_mul_i32 s18, s11, s18
	s_add_u32 s17, s17, s18
	s_mul_hi_u32 s19, s11, s7
	s_addc_u32 s16, s16, s20
	s_addc_u32 s17, s19, 0
	s_mul_i32 s7, s11, s7
	s_add_u32 s7, s16, s7
	s_addc_u32 s16, 0, s17
	s_add_u32 s17, s6, s7
	s_cselect_b64 s[6:7], -1, 0
	s_cmp_lg_u64 s[6:7], 0
	s_addc_u32 s11, s11, s16
	s_mul_i32 s6, s8, s11
	s_mul_hi_u32 s7, s8, s17
	s_add_i32 s6, s7, s6
	s_mul_i32 s9, s9, s17
	s_add_i32 s6, s6, s9
	s_mul_i32 s8, s8, s17
	s_mul_hi_u32 s9, s11, s8
	s_mul_i32 s16, s11, s8
	s_mul_i32 s19, s17, s6
	s_mul_hi_u32 s8, s17, s8
	s_mul_hi_u32 s18, s17, s6
	s_add_u32 s8, s8, s19
	s_addc_u32 s18, 0, s18
	s_add_u32 s8, s8, s16
	s_mul_hi_u32 s7, s11, s6
	s_addc_u32 s8, s18, s9
	s_addc_u32 s7, s7, 0
	s_mul_i32 s6, s11, s6
	s_add_u32 s6, s8, s6
	s_addc_u32 s8, 0, s7
	s_add_u32 s9, s17, s6
	s_cselect_b64 s[6:7], -1, 0
	s_cmp_lg_u64 s[6:7], 0
	v_lshl_add_u64 v[4:5], v[6:7], 0, v[10:11]
	s_addc_u32 s8, s11, s8
	v_xor_b32_e32 v9, v4, v10
	v_xor_b32_e32 v3, v5, v10
	v_mad_u64_u32 v[4:5], s[6:7], v9, s8, 0
	v_mul_hi_u32 v12, v9, s9
	v_lshl_add_u64 v[4:5], v[12:13], 0, v[4:5]
	v_mad_u64_u32 v[14:15], s[6:7], v3, s9, 0
	v_add_co_u32_e32 v4, vcc, v4, v14
	v_mad_u64_u32 v[12:13], s[6:7], v3, s8, 0
	s_nop 0
	v_addc_co_u32_e32 v4, vcc, v5, v15, vcc
	v_mov_b32_e32 v5, v8
	s_nop 0
	v_addc_co_u32_e32 v13, vcc, 0, v13, vcc
	v_lshl_add_u64 v[4:5], v[4:5], 0, v[12:13]
	v_mul_lo_u32 v8, s15, v4
	v_mul_lo_u32 v11, s14, v5
	v_mad_u64_u32 v[4:5], s[6:7], s14, v4, 0
	v_add3_u32 v5, v5, v11, v8
	v_sub_u32_e32 v8, v3, v5
	v_mov_b32_e32 v11, s15
	v_sub_co_u32_e32 v4, vcc, v9, v4
	s_nop 1
	v_subb_co_u32_e64 v8, s[6:7], v8, v11, vcc
	v_subrev_co_u32_e64 v9, s[6:7], s14, v4
	v_subb_co_u32_e32 v3, vcc, v3, v5, vcc
	s_nop 0
	v_subbrev_co_u32_e64 v12, s[8:9], 0, v8, s[6:7]
	v_cmp_le_u32_e64 s[8:9], s15, v12
	v_subb_co_u32_e64 v8, s[6:7], v8, v11, s[6:7]
	s_nop 0
	v_cndmask_b32_e64 v13, 0, -1, s[8:9]
	v_cmp_le_u32_e64 s[8:9], s14, v9
	v_subrev_co_u32_e64 v11, s[6:7], s14, v9
	s_nop 0
	v_cndmask_b32_e64 v14, 0, -1, s[8:9]
	v_cmp_eq_u32_e64 s[8:9], s15, v12
	v_subbrev_co_u32_e64 v8, s[6:7], 0, v8, s[6:7]
	s_nop 0
	v_cndmask_b32_e64 v13, v13, v14, s[8:9]
	v_cmp_le_u32_e32 vcc, s15, v3
	v_cmp_ne_u32_e64 s[6:7], 0, v13
	s_nop 0
	v_cndmask_b32_e64 v5, 0, -1, vcc
	v_cmp_le_u32_e32 vcc, s14, v4
	v_cndmask_b32_e64 v8, v12, v8, s[6:7]
	s_nop 0
	v_cndmask_b32_e64 v12, 0, -1, vcc
	v_cmp_eq_u32_e32 vcc, s15, v3
	s_nop 1
	v_cndmask_b32_e32 v5, v5, v12, vcc
	v_cmp_ne_u32_e32 vcc, 0, v5
	v_cndmask_b32_e64 v5, v9, v11, s[6:7]
	s_nop 0
	v_cndmask_b32_e32 v4, v4, v5, vcc
	v_cndmask_b32_e32 v3, v3, v8, vcc
	v_xor_b32_e32 v4, v4, v10
	v_xor_b32_e32 v3, v3, v10
	v_sub_co_u32_e32 v4, vcc, v4, v10
	s_nop 1
	v_subb_co_u32_e32 v5, vcc, v3, v10, vcc
.LBB60_7:
	s_or_saveexec_b64 s[6:7], s[12:13]
	s_load_dwordx2 s[44:45], s[0:1], 0xa8
	s_load_dwordx8 s[24:31], s[0:1], 0x88
	s_xor_b64 exec, exec, s[6:7]
	s_cbranch_execz .LBB60_9
; %bb.8:
	v_cvt_f32_u32_e32 v3, s10
	s_sub_i32 s8, 0, s10
	v_mov_b32_e32 v5, 0
	v_rcp_iflag_f32_e32 v3, v3
	s_nop 0
	v_mul_f32_e32 v3, 0x4f7ffffe, v3
	v_cvt_u32_f32_e32 v3, v3
	v_mul_lo_u32 v4, s8, v3
	v_mul_hi_u32 v4, v3, v4
	v_add_u32_e32 v3, v3, v4
	v_mul_hi_u32 v3, v6, v3
	v_mul_lo_u32 v3, v3, s10
	v_sub_u32_e32 v3, v6, v3
	v_subrev_u32_e32 v4, s10, v3
	v_cmp_le_u32_e32 vcc, s10, v3
	s_nop 1
	v_cndmask_b32_e32 v3, v3, v4, vcc
	v_subrev_u32_e32 v4, s10, v3
	v_cmp_le_u32_e32 vcc, s10, v3
	s_nop 1
	v_cndmask_b32_e32 v4, v3, v4, vcc
.LBB60_9:
	s_or_b64 exec, exec, s[6:7]
	s_load_dwordx2 s[46:47], s[0:1], 0x58
	s_load_dwordx2 s[48:49], s[0:1], 0x0
	v_or_b32_e32 v11, s5, v1
	v_mov_b32_e32 v10, 0
	v_cmp_ne_u64_e32 vcc, 0, v[10:11]
                                        ; implicit-def: $vgpr8_vgpr9
	s_and_saveexec_b64 s[6:7], vcc
	s_xor_b64 s[8:9], exec, s[6:7]
	s_cbranch_execz .LBB60_11
; %bb.10:
	s_ashr_i32 s10, s5, 31
	s_add_u32 s6, s2, s10
	s_mov_b32 s11, s10
	s_addc_u32 s7, s5, s10
	s_xor_b64 s[12:13], s[6:7], s[10:11]
	v_cvt_f32_u32_e32 v3, s12
	v_cvt_f32_u32_e32 v8, s13
	s_sub_u32 s5, 0, s12
	s_subb_u32 s11, 0, s13
	v_mov_b32_e32 v13, v10
	v_fmamk_f32 v3, v8, 0x4f800000, v3
	v_rcp_f32_e32 v3, v3
	s_nop 0
	v_mul_f32_e32 v3, 0x5f7ffffc, v3
	v_mul_f32_e32 v8, 0x2f800000, v3
	v_trunc_f32_e32 v8, v8
	v_fmamk_f32 v3, v8, 0xcf800000, v3
	v_cvt_u32_f32_e32 v8, v8
	v_cvt_u32_f32_e32 v3, v3
	v_readfirstlane_b32 s14, v8
	v_readfirstlane_b32 s6, v3
	s_mul_i32 s7, s5, s14
	s_mul_hi_u32 s16, s5, s6
	s_mul_i32 s15, s11, s6
	s_add_i32 s7, s16, s7
	s_add_i32 s7, s7, s15
	s_mul_i32 s17, s5, s6
	s_mul_i32 s16, s6, s7
	s_mul_hi_u32 s18, s6, s17
	s_mul_hi_u32 s15, s6, s7
	s_add_u32 s16, s18, s16
	s_addc_u32 s15, 0, s15
	s_mul_hi_u32 s19, s14, s17
	s_mul_i32 s17, s14, s17
	s_add_u32 s16, s16, s17
	s_mul_hi_u32 s18, s14, s7
	s_addc_u32 s15, s15, s19
	s_addc_u32 s16, s18, 0
	s_mul_i32 s7, s14, s7
	s_add_u32 s7, s15, s7
	s_addc_u32 s15, 0, s16
	s_add_u32 s16, s6, s7
	s_cselect_b64 s[6:7], -1, 0
	s_cmp_lg_u64 s[6:7], 0
	s_addc_u32 s14, s14, s15
	s_mul_i32 s6, s5, s14
	s_mul_hi_u32 s7, s5, s16
	s_add_i32 s6, s7, s6
	s_mul_i32 s11, s11, s16
	s_add_i32 s6, s6, s11
	s_mul_i32 s5, s5, s16
	s_mul_hi_u32 s11, s14, s5
	s_mul_i32 s15, s14, s5
	s_mul_i32 s18, s16, s6
	s_mul_hi_u32 s5, s16, s5
	s_mul_hi_u32 s17, s16, s6
	s_add_u32 s5, s5, s18
	s_addc_u32 s17, 0, s17
	s_add_u32 s5, s5, s15
	s_mul_hi_u32 s7, s14, s6
	s_addc_u32 s5, s17, s11
	s_addc_u32 s7, s7, 0
	s_mul_i32 s6, s14, s6
	s_add_u32 s5, s5, s6
	s_addc_u32 s11, 0, s7
	s_add_u32 s5, s16, s5
	s_cselect_b64 s[6:7], -1, 0
	v_mov_b32_e32 v3, v2
	s_cmp_lg_u64 s[6:7], 0
	v_lshl_add_u64 v[8:9], v[0:1], 0, v[2:3]
	s_addc_u32 s11, s14, s11
	v_xor_b32_e32 v16, v8, v2
	v_xor_b32_e32 v3, v9, v2
	v_mad_u64_u32 v[8:9], s[6:7], v16, s11, 0
	v_mul_hi_u32 v12, v16, s5
	v_lshl_add_u64 v[8:9], v[12:13], 0, v[8:9]
	v_mad_u64_u32 v[14:15], s[6:7], v3, s5, 0
	v_add_co_u32_e32 v8, vcc, v8, v14
	v_mad_u64_u32 v[12:13], s[6:7], v3, s11, 0
	s_nop 0
	v_addc_co_u32_e32 v8, vcc, v9, v15, vcc
	v_mov_b32_e32 v9, v10
	s_nop 0
	v_addc_co_u32_e32 v13, vcc, 0, v13, vcc
	v_lshl_add_u64 v[8:9], v[8:9], 0, v[12:13]
	v_mul_lo_u32 v12, s13, v8
	v_mul_lo_u32 v13, s12, v9
	v_mad_u64_u32 v[10:11], s[6:7], s12, v8, 0
	v_add3_u32 v14, v11, v13, v12
	v_sub_u32_e32 v11, v3, v14
	v_mov_b32_e32 v12, s13
	v_sub_co_u32_e32 v15, vcc, v16, v10
	v_xor_b32_e32 v2, s10, v2
	s_nop 0
	v_subb_co_u32_e64 v10, s[6:7], v11, v12, vcc
	v_subrev_co_u32_e64 v11, s[6:7], s12, v15
	v_subb_co_u32_e32 v3, vcc, v3, v14, vcc
	s_nop 0
	v_subbrev_co_u32_e64 v10, s[6:7], 0, v10, s[6:7]
	v_cmp_le_u32_e64 s[6:7], s13, v10
	v_cmp_le_u32_e32 vcc, s13, v3
	s_nop 0
	v_cndmask_b32_e64 v12, 0, -1, s[6:7]
	v_cmp_le_u32_e64 s[6:7], s12, v11
	s_nop 1
	v_cndmask_b32_e64 v11, 0, -1, s[6:7]
	v_cmp_eq_u32_e64 s[6:7], s13, v10
	s_nop 1
	v_cndmask_b32_e64 v16, v12, v11, s[6:7]
	v_lshl_add_u64 v[10:11], v[8:9], 0, 2
	v_lshl_add_u64 v[12:13], v[8:9], 0, 1
	v_cmp_ne_u32_e64 s[6:7], 0, v16
	s_nop 1
	v_cndmask_b32_e64 v11, v13, v11, s[6:7]
	v_cndmask_b32_e64 v13, 0, -1, vcc
	v_cmp_le_u32_e32 vcc, s12, v15
	s_nop 1
	v_cndmask_b32_e64 v14, 0, -1, vcc
	v_cmp_eq_u32_e32 vcc, s13, v3
	s_nop 1
	v_cndmask_b32_e32 v3, v13, v14, vcc
	v_cmp_ne_u32_e32 vcc, 0, v3
	s_nop 1
	v_cndmask_b32_e32 v3, v9, v11, vcc
	v_cndmask_b32_e64 v9, v12, v10, s[6:7]
	v_cndmask_b32_e32 v8, v8, v9, vcc
	v_xor_b32_e32 v8, v8, v2
	v_xor_b32_e32 v3, v3, v2
	v_sub_co_u32_e32 v8, vcc, v8, v2
	s_nop 1
	v_subb_co_u32_e32 v9, vcc, v3, v2, vcc
.LBB60_11:
	s_or_saveexec_b64 s[6:7], s[8:9]
	s_load_dwordx16 s[8:23], s[0:1], 0x18
	s_xor_b64 exec, exec, s[6:7]
	s_cbranch_execz .LBB60_13
; %bb.12:
	v_cvt_f32_u32_e32 v2, s2
	s_sub_i32 s5, 0, s2
	v_rcp_iflag_f32_e32 v2, v2
	s_nop 0
	v_mul_f32_e32 v2, 0x4f7ffffe, v2
	v_cvt_u32_f32_e32 v2, v2
	v_mul_lo_u32 v3, s5, v2
	v_mul_hi_u32 v3, v2, v3
	v_add_u32_e32 v2, v2, v3
	v_mul_hi_u32 v2, v0, v2
	v_mul_lo_u32 v3, v2, s2
	v_sub_u32_e32 v3, v0, v3
	v_add_u32_e32 v8, 1, v2
	v_subrev_u32_e32 v9, s2, v3
	v_cmp_le_u32_e32 vcc, s2, v3
	s_nop 1
	v_cndmask_b32_e32 v3, v3, v9, vcc
	v_cndmask_b32_e32 v2, v2, v8, vcc
	v_add_u32_e32 v8, 1, v2
	v_cmp_le_u32_e32 vcc, s2, v3
	v_mov_b32_e32 v9, 0
	s_nop 0
	v_cndmask_b32_e32 v8, v2, v8, vcc
.LBB60_13:
	s_or_b64 exec, exec, s[6:7]
	s_load_dwordx8 s[36:43], s[0:1], 0xb0
	v_mad_u64_u32 v[2:3], s[6:7], v6, s34, 0
	v_mul_lo_u32 v7, v7, s34
	v_mul_lo_u32 v10, v6, s35
	s_waitcnt lgkmcnt(0)
	s_sub_u32 s6, 0, s36
	s_subb_u32 s7, 0, s37
	s_sub_u32 s34, 0, s38
	s_subb_u32 s35, 0, s39
	;; [unrolled: 2-line block ×3, first 2 shown]
	v_cmp_gt_i64_e64 s[52:53], s[6:7], 0
	s_and_b64 s[52:53], s[52:53], exec
	s_cselect_b32 s2, s7, 0
	s_cselect_b32 s5, s6, 0
	v_cmp_gt_i64_e64 s[6:7], s[36:37], 0
	s_and_b64 s[6:7], s[6:7], exec
	v_cmp_gt_i64_e64 s[6:7], s[34:35], 0
	s_cselect_b32 s53, s37, 0
	s_cselect_b32 s52, s36, 0
	s_and_b64 s[6:7], s[6:7], exec
	v_add3_u32 v3, v3, v10, v7
	v_sub_co_u32_e32 v0, vcc, v0, v2
	v_cmp_gt_i64_e64 s[6:7], s[38:39], 0
	s_nop 0
	v_subb_co_u32_e32 v1, vcc, v1, v3, vcc
	s_cselect_b32 s33, s35, 0
	s_cselect_b32 s54, s34, 0
	s_and_b64 s[6:7], s[6:7], exec
	v_cmp_gt_i64_e64 s[6:7], s[50:51], 0
	v_mov_b32_e32 v2, s37
	v_subrev_co_u32_e32 v3, vcc, s36, v0
	s_cselect_b32 s35, s39, 0
	s_cselect_b32 s34, s38, 0
	s_and_b64 s[6:7], s[6:7], exec
	v_subb_co_u32_e32 v2, vcc, v1, v2, vcc
	v_cmp_gt_i64_e64 s[6:7], s[40:41], 0
	v_ashrrev_i32_e32 v6, 31, v2
	s_cselect_b32 s55, s51, 0
	s_cselect_b32 s56, s50, 0
	s_and_b64 s[6:7], s[6:7], exec
	v_xor_b32_e32 v7, v2, v6
	v_xor_b32_e32 v2, v3, v6
	s_cselect_b32 s7, s41, 0
	s_cselect_b32 s6, s40, 0
	v_sub_co_u32_e32 v2, vcc, v2, v6
	s_add_u32 s50, s36, s12
	s_nop 0
	v_subb_co_u32_e32 v3, vcc, v7, v6, vcc
	s_addc_u32 s51, s37, s13
	v_mov_b32_e32 v7, s51
	v_subrev_co_u32_e32 v6, vcc, s50, v0
	s_lshl_b64 s[36:37], s[36:37], 1
	s_nop 0
	v_subb_co_u32_e32 v7, vcc, v1, v7, vcc
	s_not_b64 s[50:51], s[52:53]
	v_lshl_add_u64 v[6:7], v[6:7], 0, 1
	s_add_u32 s36, s36, s50
	v_ashrrev_i32_e32 v10, 31, v7
	s_addc_u32 s37, s37, s51
	v_xor_b32_e32 v6, v6, v10
	s_add_u32 s5, s36, s5
	v_xor_b32_e32 v7, v7, v10
	v_sub_co_u32_e32 v6, vcc, v6, v10
	s_addc_u32 s2, s37, s2
	s_nop 0
	v_subb_co_u32_e32 v7, vcc, v7, v10, vcc
	s_add_u32 s5, s5, s12
	s_addc_u32 s2, s2, s13
	v_lshl_add_u64 v[6:7], v[0:1], 0, v[6:7]
	v_mov_b32_e32 v10, s2
	v_sub_co_u32_e32 v6, vcc, s5, v6
	s_add_u32 s2, s38, s10
	s_nop 0
	v_subb_co_u32_e32 v7, vcc, v10, v7, vcc
	v_lshl_add_u64 v[2:3], v[6:7], 0, v[2:3]
	v_mov_b32_e32 v6, s39
	v_subrev_co_u32_e32 v7, vcc, s38, v4
	s_addc_u32 s5, s39, s11
	s_nop 0
	v_subb_co_u32_e32 v6, vcc, v5, v6, vcc
	v_ashrrev_i32_e32 v10, 31, v6
	v_xor_b32_e32 v11, v6, v10
	v_xor_b32_e32 v6, v7, v10
	v_sub_co_u32_e32 v6, vcc, v6, v10
	s_lshl_b64 s[12:13], s[38:39], 1
	s_nop 0
	v_subb_co_u32_e32 v7, vcc, v11, v10, vcc
	v_mov_b32_e32 v11, s5
	v_subrev_co_u32_e32 v10, vcc, s2, v4
	s_not_b64 s[34:35], s[34:35]
	s_nop 0
	v_subb_co_u32_e32 v11, vcc, v5, v11, vcc
	v_lshl_add_u64 v[10:11], v[10:11], 0, 1
	s_add_u32 s2, s12, s34
	v_ashrrev_i32_e32 v12, 31, v11
	s_addc_u32 s5, s13, s35
	v_xor_b32_e32 v10, v10, v12
	s_add_u32 s2, s2, s54
	v_xor_b32_e32 v11, v11, v12
	v_sub_co_u32_e32 v10, vcc, v10, v12
	s_addc_u32 s5, s5, s33
	s_nop 0
	v_subb_co_u32_e32 v11, vcc, v11, v12, vcc
	s_add_u32 s2, s2, s10
	s_addc_u32 s5, s5, s11
	v_lshl_add_u64 v[10:11], v[4:5], 0, v[10:11]
	v_mov_b32_e32 v12, s5
	v_sub_co_u32_e32 v10, vcc, s2, v10
	s_add_u32 s2, s40, s8
	s_nop 0
	v_subb_co_u32_e32 v11, vcc, v12, v11, vcc
	v_lshl_add_u64 v[6:7], v[10:11], 0, v[6:7]
	v_mov_b32_e32 v10, s41
	v_subrev_co_u32_e32 v11, vcc, s40, v8
	s_addc_u32 s5, s41, s9
	s_nop 0
	v_subb_co_u32_e32 v10, vcc, v9, v10, vcc
	v_ashrrev_i32_e32 v12, 31, v10
	v_xor_b32_e32 v13, v10, v12
	v_xor_b32_e32 v10, v11, v12
	v_sub_co_u32_e32 v10, vcc, v10, v12
	s_lshl_b64 s[10:11], s[40:41], 1
	s_nop 0
	v_subb_co_u32_e32 v11, vcc, v13, v12, vcc
	s_not_b64 s[6:7], s[6:7]
	v_mov_b32_e32 v13, s5
	v_subrev_co_u32_e32 v12, vcc, s2, v8
	s_add_u32 s2, s10, s6
	s_nop 0
	v_subb_co_u32_e32 v13, vcc, v9, v13, vcc
	s_addc_u32 s5, s11, s7
	v_lshl_add_u64 v[12:13], v[12:13], 0, 1
	s_add_u32 s2, s2, s56
	s_load_dwordx2 s[0:1], s[0:1], 0xd0
	v_ashrrev_i32_e32 v14, 31, v13
	s_addc_u32 s5, s5, s55
	v_xor_b32_e32 v12, v12, v14
	s_add_u32 s2, s2, s8
	v_xor_b32_e32 v13, v13, v14
	v_sub_co_u32_e32 v12, vcc, v12, v14
	s_addc_u32 s5, s5, s9
	s_nop 0
	v_subb_co_u32_e32 v13, vcc, v13, v14, vcc
	v_mov_b32_e32 v14, s5
	s_add_u32 s5, s42, s3
	s_addc_u32 s6, s43, 0
	s_waitcnt lgkmcnt(0)
	s_add_u32 s4, s0, s4
	s_addc_u32 s7, s1, 0
	s_mul_i32 s0, s14, s7
	s_mul_hi_u32 s1, s14, s4
	s_add_i32 s0, s1, s0
	s_mul_i32 s1, s15, s4
	s_add_i32 s1, s0, s1
	s_mul_i32 s0, s14, s4
	v_lshl_add_u64 v[12:13], v[8:9], 0, v[12:13]
	s_lshl_b64 s[0:1], s[0:1], 3
	v_sub_co_u32_e32 v12, vcc, s2, v12
	s_add_u32 s2, s48, s0
	s_addc_u32 s3, s49, s1
	s_mul_i32 s0, s16, s6
	s_mul_hi_u32 s1, s16, s5
	s_add_i32 s0, s1, s0
	s_mul_i32 s1, s17, s5
	s_add_i32 s1, s0, s1
	s_mul_i32 s0, s16, s5
	v_subb_co_u32_e32 v13, vcc, v14, v13, vcc
	s_lshl_b64 s[0:1], s[0:1], 3
	v_lshl_add_u64 v[10:11], v[12:13], 0, v[10:11]
	s_add_u32 s0, s2, s0
	s_addc_u32 s1, s3, s1
	v_mul_lo_u32 v12, v11, s18
	v_mul_lo_u32 v13, v10, s19
	v_mad_u64_u32 v[10:11], s[2:3], v10, s18, 0
	v_add3_u32 v11, v11, v13, v12
	v_lshl_add_u64 v[10:11], v[10:11], 3, s[0:1]
	v_mul_lo_u32 v12, v7, s20
	v_mul_lo_u32 v13, v6, s21
	v_mad_u64_u32 v[6:7], s[0:1], v6, s20, 0
	v_add3_u32 v7, v7, v13, v12
	v_lshl_add_u64 v[6:7], v[6:7], 3, v[10:11]
	;; [unrolled: 5-line block ×3, first 2 shown]
	global_load_dwordx2 v[2:3], v[2:3], off
	s_mul_i32 s0, s24, s7
	s_mul_hi_u32 s1, s24, s4
	s_add_i32 s0, s1, s0
	s_mul_i32 s1, s25, s4
	s_add_i32 s1, s0, s1
	s_mul_i32 s0, s24, s4
	s_lshl_b64 s[0:1], s[0:1], 3
	s_add_u32 s2, s46, s0
	s_addc_u32 s3, s47, s1
	s_mul_i32 s0, s26, s6
	s_mul_hi_u32 s1, s26, s5
	s_add_i32 s0, s1, s0
	s_mul_i32 s1, s27, s5
	s_add_i32 s1, s0, s1
	s_mul_i32 s0, s26, s5
	s_lshl_b64 s[0:1], s[0:1], 3
	s_add_u32 s0, s2, s0
	s_addc_u32 s1, s3, s1
	v_mul_lo_u32 v9, v9, s28
	v_mul_lo_u32 v10, v8, s29
	v_mad_u64_u32 v[6:7], s[2:3], v8, s28, 0
	v_add3_u32 v7, v7, v10, v9
	v_lshl_add_u64 v[6:7], v[6:7], 3, s[0:1]
	v_mul_lo_u32 v8, v5, s30
	v_mul_lo_u32 v9, v4, s31
	v_mad_u64_u32 v[4:5], s[0:1], v4, s30, 0
	v_add3_u32 v5, v5, v9, v8
	v_lshl_add_u64 v[4:5], v[4:5], 3, v[6:7]
	;; [unrolled: 5-line block ×3, first 2 shown]
	s_waitcnt vmcnt(0)
	global_store_dwordx2 v[0:1], v[2:3], off
.LBB60_14:
	s_endpgm
	.section	.rodata,"a",@progbits
	.p2align	6, 0x0
	.amdhsa_kernel _ZN2at6native12_GLOBAL__N_127reflection_pad3d_out_kernelIlEEvN5torch10headeronly6detail27GenericPackedTensorAccessorINS5_14TensorAccessorIN3c108ArrayRefIlEEKT_Lm4ENS4_16DefaultPtrTraitsElEENS_6detail16IndexBoundsCheckILm5ElEESC_Lm5ESD_lEENS6_INS7_ISA_SB_Lm4ESD_lEESH_SB_Lm5ESD_lEElllll
		.amdhsa_group_segment_fixed_size 0
		.amdhsa_private_segment_fixed_size 0
		.amdhsa_kernarg_size 472
		.amdhsa_user_sgpr_count 2
		.amdhsa_user_sgpr_dispatch_ptr 0
		.amdhsa_user_sgpr_queue_ptr 0
		.amdhsa_user_sgpr_kernarg_segment_ptr 1
		.amdhsa_user_sgpr_dispatch_id 0
		.amdhsa_user_sgpr_kernarg_preload_length 0
		.amdhsa_user_sgpr_kernarg_preload_offset 0
		.amdhsa_user_sgpr_private_segment_size 0
		.amdhsa_uses_dynamic_stack 0
		.amdhsa_enable_private_segment 0
		.amdhsa_system_sgpr_workgroup_id_x 1
		.amdhsa_system_sgpr_workgroup_id_y 1
		.amdhsa_system_sgpr_workgroup_id_z 1
		.amdhsa_system_sgpr_workgroup_info 0
		.amdhsa_system_vgpr_workitem_id 0
		.amdhsa_next_free_vgpr 17
		.amdhsa_next_free_sgpr 57
		.amdhsa_accum_offset 20
		.amdhsa_reserve_vcc 1
		.amdhsa_float_round_mode_32 0
		.amdhsa_float_round_mode_16_64 0
		.amdhsa_float_denorm_mode_32 3
		.amdhsa_float_denorm_mode_16_64 3
		.amdhsa_dx10_clamp 1
		.amdhsa_ieee_mode 1
		.amdhsa_fp16_overflow 0
		.amdhsa_tg_split 0
		.amdhsa_exception_fp_ieee_invalid_op 0
		.amdhsa_exception_fp_denorm_src 0
		.amdhsa_exception_fp_ieee_div_zero 0
		.amdhsa_exception_fp_ieee_overflow 0
		.amdhsa_exception_fp_ieee_underflow 0
		.amdhsa_exception_fp_ieee_inexact 0
		.amdhsa_exception_int_div_zero 0
	.end_amdhsa_kernel
	.section	.text._ZN2at6native12_GLOBAL__N_127reflection_pad3d_out_kernelIlEEvN5torch10headeronly6detail27GenericPackedTensorAccessorINS5_14TensorAccessorIN3c108ArrayRefIlEEKT_Lm4ENS4_16DefaultPtrTraitsElEENS_6detail16IndexBoundsCheckILm5ElEESC_Lm5ESD_lEENS6_INS7_ISA_SB_Lm4ESD_lEESH_SB_Lm5ESD_lEElllll,"axG",@progbits,_ZN2at6native12_GLOBAL__N_127reflection_pad3d_out_kernelIlEEvN5torch10headeronly6detail27GenericPackedTensorAccessorINS5_14TensorAccessorIN3c108ArrayRefIlEEKT_Lm4ENS4_16DefaultPtrTraitsElEENS_6detail16IndexBoundsCheckILm5ElEESC_Lm5ESD_lEENS6_INS7_ISA_SB_Lm4ESD_lEESH_SB_Lm5ESD_lEElllll,comdat
.Lfunc_end60:
	.size	_ZN2at6native12_GLOBAL__N_127reflection_pad3d_out_kernelIlEEvN5torch10headeronly6detail27GenericPackedTensorAccessorINS5_14TensorAccessorIN3c108ArrayRefIlEEKT_Lm4ENS4_16DefaultPtrTraitsElEENS_6detail16IndexBoundsCheckILm5ElEESC_Lm5ESD_lEENS6_INS7_ISA_SB_Lm4ESD_lEESH_SB_Lm5ESD_lEElllll, .Lfunc_end60-_ZN2at6native12_GLOBAL__N_127reflection_pad3d_out_kernelIlEEvN5torch10headeronly6detail27GenericPackedTensorAccessorINS5_14TensorAccessorIN3c108ArrayRefIlEEKT_Lm4ENS4_16DefaultPtrTraitsElEENS_6detail16IndexBoundsCheckILm5ElEESC_Lm5ESD_lEENS6_INS7_ISA_SB_Lm4ESD_lEESH_SB_Lm5ESD_lEElllll
                                        ; -- End function
	.set _ZN2at6native12_GLOBAL__N_127reflection_pad3d_out_kernelIlEEvN5torch10headeronly6detail27GenericPackedTensorAccessorINS5_14TensorAccessorIN3c108ArrayRefIlEEKT_Lm4ENS4_16DefaultPtrTraitsElEENS_6detail16IndexBoundsCheckILm5ElEESC_Lm5ESD_lEENS6_INS7_ISA_SB_Lm4ESD_lEESH_SB_Lm5ESD_lEElllll.num_vgpr, 17
	.set _ZN2at6native12_GLOBAL__N_127reflection_pad3d_out_kernelIlEEvN5torch10headeronly6detail27GenericPackedTensorAccessorINS5_14TensorAccessorIN3c108ArrayRefIlEEKT_Lm4ENS4_16DefaultPtrTraitsElEENS_6detail16IndexBoundsCheckILm5ElEESC_Lm5ESD_lEENS6_INS7_ISA_SB_Lm4ESD_lEESH_SB_Lm5ESD_lEElllll.num_agpr, 0
	.set _ZN2at6native12_GLOBAL__N_127reflection_pad3d_out_kernelIlEEvN5torch10headeronly6detail27GenericPackedTensorAccessorINS5_14TensorAccessorIN3c108ArrayRefIlEEKT_Lm4ENS4_16DefaultPtrTraitsElEENS_6detail16IndexBoundsCheckILm5ElEESC_Lm5ESD_lEENS6_INS7_ISA_SB_Lm4ESD_lEESH_SB_Lm5ESD_lEElllll.numbered_sgpr, 57
	.set _ZN2at6native12_GLOBAL__N_127reflection_pad3d_out_kernelIlEEvN5torch10headeronly6detail27GenericPackedTensorAccessorINS5_14TensorAccessorIN3c108ArrayRefIlEEKT_Lm4ENS4_16DefaultPtrTraitsElEENS_6detail16IndexBoundsCheckILm5ElEESC_Lm5ESD_lEENS6_INS7_ISA_SB_Lm4ESD_lEESH_SB_Lm5ESD_lEElllll.num_named_barrier, 0
	.set _ZN2at6native12_GLOBAL__N_127reflection_pad3d_out_kernelIlEEvN5torch10headeronly6detail27GenericPackedTensorAccessorINS5_14TensorAccessorIN3c108ArrayRefIlEEKT_Lm4ENS4_16DefaultPtrTraitsElEENS_6detail16IndexBoundsCheckILm5ElEESC_Lm5ESD_lEENS6_INS7_ISA_SB_Lm4ESD_lEESH_SB_Lm5ESD_lEElllll.private_seg_size, 0
	.set _ZN2at6native12_GLOBAL__N_127reflection_pad3d_out_kernelIlEEvN5torch10headeronly6detail27GenericPackedTensorAccessorINS5_14TensorAccessorIN3c108ArrayRefIlEEKT_Lm4ENS4_16DefaultPtrTraitsElEENS_6detail16IndexBoundsCheckILm5ElEESC_Lm5ESD_lEENS6_INS7_ISA_SB_Lm4ESD_lEESH_SB_Lm5ESD_lEElllll.uses_vcc, 1
	.set _ZN2at6native12_GLOBAL__N_127reflection_pad3d_out_kernelIlEEvN5torch10headeronly6detail27GenericPackedTensorAccessorINS5_14TensorAccessorIN3c108ArrayRefIlEEKT_Lm4ENS4_16DefaultPtrTraitsElEENS_6detail16IndexBoundsCheckILm5ElEESC_Lm5ESD_lEENS6_INS7_ISA_SB_Lm4ESD_lEESH_SB_Lm5ESD_lEElllll.uses_flat_scratch, 0
	.set _ZN2at6native12_GLOBAL__N_127reflection_pad3d_out_kernelIlEEvN5torch10headeronly6detail27GenericPackedTensorAccessorINS5_14TensorAccessorIN3c108ArrayRefIlEEKT_Lm4ENS4_16DefaultPtrTraitsElEENS_6detail16IndexBoundsCheckILm5ElEESC_Lm5ESD_lEENS6_INS7_ISA_SB_Lm4ESD_lEESH_SB_Lm5ESD_lEElllll.has_dyn_sized_stack, 0
	.set _ZN2at6native12_GLOBAL__N_127reflection_pad3d_out_kernelIlEEvN5torch10headeronly6detail27GenericPackedTensorAccessorINS5_14TensorAccessorIN3c108ArrayRefIlEEKT_Lm4ENS4_16DefaultPtrTraitsElEENS_6detail16IndexBoundsCheckILm5ElEESC_Lm5ESD_lEENS6_INS7_ISA_SB_Lm4ESD_lEESH_SB_Lm5ESD_lEElllll.has_recursion, 0
	.set _ZN2at6native12_GLOBAL__N_127reflection_pad3d_out_kernelIlEEvN5torch10headeronly6detail27GenericPackedTensorAccessorINS5_14TensorAccessorIN3c108ArrayRefIlEEKT_Lm4ENS4_16DefaultPtrTraitsElEENS_6detail16IndexBoundsCheckILm5ElEESC_Lm5ESD_lEENS6_INS7_ISA_SB_Lm4ESD_lEESH_SB_Lm5ESD_lEElllll.has_indirect_call, 0
	.section	.AMDGPU.csdata,"",@progbits
; Kernel info:
; codeLenInByte = 3652
; TotalNumSgprs: 63
; NumVgprs: 17
; NumAgprs: 0
; TotalNumVgprs: 17
; ScratchSize: 0
; MemoryBound: 0
; FloatMode: 240
; IeeeMode: 1
; LDSByteSize: 0 bytes/workgroup (compile time only)
; SGPRBlocks: 7
; VGPRBlocks: 2
; NumSGPRsForWavesPerEU: 63
; NumVGPRsForWavesPerEU: 17
; AccumOffset: 20
; Occupancy: 8
; WaveLimiterHint : 0
; COMPUTE_PGM_RSRC2:SCRATCH_EN: 0
; COMPUTE_PGM_RSRC2:USER_SGPR: 2
; COMPUTE_PGM_RSRC2:TRAP_HANDLER: 0
; COMPUTE_PGM_RSRC2:TGID_X_EN: 1
; COMPUTE_PGM_RSRC2:TGID_Y_EN: 1
; COMPUTE_PGM_RSRC2:TGID_Z_EN: 1
; COMPUTE_PGM_RSRC2:TIDIG_COMP_CNT: 0
; COMPUTE_PGM_RSRC3_GFX90A:ACCUM_OFFSET: 4
; COMPUTE_PGM_RSRC3_GFX90A:TG_SPLIT: 0
	.section	.text._ZN2at6native12_GLOBAL__N_127reflection_pad3d_out_kernelIsEEvN5torch10headeronly6detail27GenericPackedTensorAccessorINS5_14TensorAccessorIN3c108ArrayRefIlEEKT_Lm4ENS4_16DefaultPtrTraitsElEENS_6detail16IndexBoundsCheckILm5ElEESC_Lm5ESD_lEENS6_INS7_ISA_SB_Lm4ESD_lEESH_SB_Lm5ESD_lEElllll,"axG",@progbits,_ZN2at6native12_GLOBAL__N_127reflection_pad3d_out_kernelIsEEvN5torch10headeronly6detail27GenericPackedTensorAccessorINS5_14TensorAccessorIN3c108ArrayRefIlEEKT_Lm4ENS4_16DefaultPtrTraitsElEENS_6detail16IndexBoundsCheckILm5ElEESC_Lm5ESD_lEENS6_INS7_ISA_SB_Lm4ESD_lEESH_SB_Lm5ESD_lEElllll,comdat
	.globl	_ZN2at6native12_GLOBAL__N_127reflection_pad3d_out_kernelIsEEvN5torch10headeronly6detail27GenericPackedTensorAccessorINS5_14TensorAccessorIN3c108ArrayRefIlEEKT_Lm4ENS4_16DefaultPtrTraitsElEENS_6detail16IndexBoundsCheckILm5ElEESC_Lm5ESD_lEENS6_INS7_ISA_SB_Lm4ESD_lEESH_SB_Lm5ESD_lEElllll ; -- Begin function _ZN2at6native12_GLOBAL__N_127reflection_pad3d_out_kernelIsEEvN5torch10headeronly6detail27GenericPackedTensorAccessorINS5_14TensorAccessorIN3c108ArrayRefIlEEKT_Lm4ENS4_16DefaultPtrTraitsElEENS_6detail16IndexBoundsCheckILm5ElEESC_Lm5ESD_lEENS6_INS7_ISA_SB_Lm4ESD_lEESH_SB_Lm5ESD_lEElllll
	.p2align	8
	.type	_ZN2at6native12_GLOBAL__N_127reflection_pad3d_out_kernelIsEEvN5torch10headeronly6detail27GenericPackedTensorAccessorINS5_14TensorAccessorIN3c108ArrayRefIlEEKT_Lm4ENS4_16DefaultPtrTraitsElEENS_6detail16IndexBoundsCheckILm5ElEESC_Lm5ESD_lEENS6_INS7_ISA_SB_Lm4ESD_lEESH_SB_Lm5ESD_lEElllll,@function
_ZN2at6native12_GLOBAL__N_127reflection_pad3d_out_kernelIsEEvN5torch10headeronly6detail27GenericPackedTensorAccessorINS5_14TensorAccessorIN3c108ArrayRefIlEEKT_Lm4ENS4_16DefaultPtrTraitsElEENS_6detail16IndexBoundsCheckILm5ElEESC_Lm5ESD_lEENS6_INS7_ISA_SB_Lm4ESD_lEESH_SB_Lm5ESD_lEElllll: ; @_ZN2at6native12_GLOBAL__N_127reflection_pad3d_out_kernelIsEEvN5torch10headeronly6detail27GenericPackedTensorAccessorINS5_14TensorAccessorIN3c108ArrayRefIlEEKT_Lm4ENS4_16DefaultPtrTraitsElEENS_6detail16IndexBoundsCheckILm5ElEESC_Lm5ESD_lEENS6_INS7_ISA_SB_Lm4ESD_lEESH_SB_Lm5ESD_lEElllll
; %bb.0:
	s_load_dword s5, s[0:1], 0xe4
	s_load_dwordx4 s[8:11], s[0:1], 0x70
	s_load_dwordx2 s[34:35], s[0:1], 0x80
	v_mov_b32_e32 v2, 0
	v_mov_b32_e32 v1, v2
	s_waitcnt lgkmcnt(0)
	s_and_b32 s5, s5, 0xffff
	v_mov_b32_e32 v3, s2
	v_mad_u64_u32 v[0:1], s[6:7], s5, v3, v[0:1]
	s_mul_i32 s2, s34, s11
	s_mul_hi_u32 s5, s34, s10
	s_add_i32 s5, s5, s2
	s_mul_i32 s2, s35, s10
	s_add_i32 s5, s5, s2
	s_mul_i32 s2, s34, s10
	s_mul_i32 s6, s2, s9
	s_mul_hi_u32 s7, s2, s8
	s_add_i32 s6, s7, s6
	s_mul_i32 s7, s5, s8
	s_add_i32 s7, s6, s7
	s_mul_i32 s6, s2, s8
	v_cmp_gt_i64_e32 vcc, s[6:7], v[0:1]
	s_and_saveexec_b64 s[6:7], vcc
	s_cbranch_execz .LBB61_14
; %bb.1:
	v_or_b32_e32 v3, s35, v1
	v_cmp_ne_u64_e32 vcc, 0, v[2:3]
	v_ashrrev_i32_e32 v2, 31, v1
                                        ; implicit-def: $vgpr6_vgpr7
	s_and_saveexec_b64 s[6:7], vcc
	s_xor_b64 s[8:9], exec, s[6:7]
	s_cbranch_execz .LBB61_3
; %bb.2:
	s_ashr_i32 s12, s35, 31
	s_add_u32 s6, s34, s12
	s_mov_b32 s13, s12
	s_addc_u32 s7, s35, s12
	s_xor_b64 s[14:15], s[6:7], s[12:13]
	v_cvt_f32_u32_e32 v3, s14
	v_cvt_f32_u32_e32 v4, s15
	s_sub_u32 s13, 0, s14
	s_subb_u32 s16, 0, s15
	v_mov_b32_e32 v7, 0
	v_fmamk_f32 v3, v4, 0x4f800000, v3
	v_rcp_f32_e32 v3, v3
	s_nop 0
	v_mul_f32_e32 v3, 0x5f7ffffc, v3
	v_mul_f32_e32 v4, 0x2f800000, v3
	v_trunc_f32_e32 v4, v4
	v_fmamk_f32 v3, v4, 0xcf800000, v3
	v_cvt_u32_f32_e32 v4, v4
	v_cvt_u32_f32_e32 v3, v3
	v_readfirstlane_b32 s17, v4
	v_readfirstlane_b32 s6, v3
	s_mul_i32 s7, s13, s17
	s_mul_hi_u32 s19, s13, s6
	s_mul_i32 s18, s16, s6
	s_add_i32 s7, s19, s7
	s_add_i32 s7, s7, s18
	s_mul_i32 s20, s13, s6
	s_mul_i32 s19, s6, s7
	s_mul_hi_u32 s21, s6, s20
	s_mul_hi_u32 s18, s6, s7
	s_add_u32 s19, s21, s19
	s_addc_u32 s18, 0, s18
	s_mul_hi_u32 s22, s17, s20
	s_mul_i32 s20, s17, s20
	s_add_u32 s19, s19, s20
	s_mul_hi_u32 s21, s17, s7
	s_addc_u32 s18, s18, s22
	s_addc_u32 s19, s21, 0
	s_mul_i32 s7, s17, s7
	s_add_u32 s7, s18, s7
	s_addc_u32 s18, 0, s19
	s_add_u32 s19, s6, s7
	s_cselect_b64 s[6:7], -1, 0
	s_cmp_lg_u64 s[6:7], 0
	s_addc_u32 s17, s17, s18
	s_mul_i32 s6, s13, s17
	s_mul_hi_u32 s7, s13, s19
	s_add_i32 s6, s7, s6
	s_mul_i32 s16, s16, s19
	s_add_i32 s6, s6, s16
	s_mul_i32 s13, s13, s19
	s_mul_hi_u32 s16, s17, s13
	s_mul_i32 s18, s17, s13
	s_mul_i32 s21, s19, s6
	s_mul_hi_u32 s13, s19, s13
	s_mul_hi_u32 s20, s19, s6
	s_add_u32 s13, s13, s21
	s_addc_u32 s20, 0, s20
	s_add_u32 s13, s13, s18
	s_mul_hi_u32 s7, s17, s6
	s_addc_u32 s13, s20, s16
	s_addc_u32 s7, s7, 0
	s_mul_i32 s6, s17, s6
	s_add_u32 s6, s13, s6
	s_addc_u32 s13, 0, s7
	s_add_u32 s16, s19, s6
	s_cselect_b64 s[6:7], -1, 0
	v_mov_b32_e32 v3, v2
	s_cmp_lg_u64 s[6:7], 0
	v_lshl_add_u64 v[4:5], v[0:1], 0, v[2:3]
	s_addc_u32 s13, s17, s13
	v_xor_b32_e32 v12, v4, v2
	v_xor_b32_e32 v3, v5, v2
	v_mad_u64_u32 v[4:5], s[6:7], v12, s13, 0
	v_mul_hi_u32 v6, v12, s16
	v_lshl_add_u64 v[4:5], v[6:7], 0, v[4:5]
	v_mad_u64_u32 v[10:11], s[6:7], v3, s16, 0
	v_add_co_u32_e32 v4, vcc, v4, v10
	v_mad_u64_u32 v[8:9], s[6:7], v3, s13, 0
	s_nop 0
	v_addc_co_u32_e32 v6, vcc, v5, v11, vcc
	s_nop 1
	v_addc_co_u32_e32 v9, vcc, 0, v9, vcc
	v_lshl_add_u64 v[4:5], v[6:7], 0, v[8:9]
	v_mul_lo_u32 v8, s15, v4
	v_mul_lo_u32 v9, s14, v5
	v_mad_u64_u32 v[6:7], s[6:7], s14, v4, 0
	v_add3_u32 v10, v7, v9, v8
	v_sub_u32_e32 v7, v3, v10
	v_mov_b32_e32 v8, s15
	v_sub_co_u32_e32 v11, vcc, v12, v6
	s_nop 1
	v_subb_co_u32_e64 v6, s[6:7], v7, v8, vcc
	v_subrev_co_u32_e64 v7, s[6:7], s14, v11
	v_subb_co_u32_e32 v3, vcc, v3, v10, vcc
	s_nop 0
	v_subbrev_co_u32_e64 v6, s[6:7], 0, v6, s[6:7]
	v_cmp_le_u32_e64 s[6:7], s15, v6
	v_cmp_le_u32_e32 vcc, s15, v3
	s_nop 0
	v_cndmask_b32_e64 v8, 0, -1, s[6:7]
	v_cmp_le_u32_e64 s[6:7], s14, v7
	s_nop 1
	v_cndmask_b32_e64 v7, 0, -1, s[6:7]
	v_cmp_eq_u32_e64 s[6:7], s15, v6
	s_nop 1
	v_cndmask_b32_e64 v12, v8, v7, s[6:7]
	v_lshl_add_u64 v[6:7], v[4:5], 0, 2
	v_lshl_add_u64 v[8:9], v[4:5], 0, 1
	v_cmp_ne_u32_e64 s[6:7], 0, v12
	s_nop 1
	v_cndmask_b32_e64 v7, v9, v7, s[6:7]
	v_cndmask_b32_e64 v9, 0, -1, vcc
	v_cmp_le_u32_e32 vcc, s14, v11
	s_nop 1
	v_cndmask_b32_e64 v10, 0, -1, vcc
	v_cmp_eq_u32_e32 vcc, s15, v3
	s_nop 1
	v_cndmask_b32_e32 v3, v9, v10, vcc
	v_cmp_ne_u32_e32 vcc, 0, v3
	s_nop 1
	v_cndmask_b32_e32 v3, v5, v7, vcc
	v_cndmask_b32_e64 v5, v8, v6, s[6:7]
	v_cndmask_b32_e32 v4, v4, v5, vcc
	v_xor_b32_e32 v5, s12, v2
	v_xor_b32_e32 v4, v4, v5
	;; [unrolled: 1-line block ×3, first 2 shown]
	v_sub_co_u32_e32 v6, vcc, v4, v5
	s_nop 1
	v_subb_co_u32_e32 v7, vcc, v3, v5, vcc
.LBB61_3:
	s_andn2_saveexec_b64 s[6:7], s[8:9]
	s_cbranch_execz .LBB61_5
; %bb.4:
	v_cvt_f32_u32_e32 v3, s34
	s_sub_i32 s8, 0, s34
	v_mov_b32_e32 v7, 0
	v_rcp_iflag_f32_e32 v3, v3
	s_nop 0
	v_mul_f32_e32 v3, 0x4f7ffffe, v3
	v_cvt_u32_f32_e32 v3, v3
	v_mul_lo_u32 v4, s8, v3
	v_mul_hi_u32 v4, v3, v4
	v_add_u32_e32 v3, v3, v4
	v_mul_hi_u32 v3, v0, v3
	v_mul_lo_u32 v4, v3, s34
	v_sub_u32_e32 v4, v0, v4
	v_add_u32_e32 v5, 1, v3
	v_subrev_u32_e32 v6, s34, v4
	v_cmp_le_u32_e32 vcc, s34, v4
	s_nop 1
	v_cndmask_b32_e32 v4, v4, v6, vcc
	v_cndmask_b32_e32 v3, v3, v5, vcc
	v_add_u32_e32 v5, 1, v3
	v_cmp_le_u32_e32 vcc, s34, v4
	s_nop 1
	v_cndmask_b32_e32 v6, v3, v5, vcc
.LBB61_5:
	s_or_b64 exec, exec, s[6:7]
	v_or_b32_e32 v9, s11, v7
	v_mov_b32_e32 v8, 0
	v_cmp_ne_u64_e32 vcc, 0, v[8:9]
                                        ; implicit-def: $vgpr4_vgpr5
	s_and_saveexec_b64 s[6:7], vcc
	s_xor_b64 s[12:13], exec, s[6:7]
	s_cbranch_execz .LBB61_7
; %bb.6:
	s_ashr_i32 s6, s11, 31
	s_add_u32 s8, s10, s6
	s_mov_b32 s7, s6
	s_addc_u32 s9, s11, s6
	s_xor_b64 s[14:15], s[8:9], s[6:7]
	v_cvt_f32_u32_e32 v3, s14
	v_cvt_f32_u32_e32 v4, s15
	s_sub_u32 s8, 0, s14
	s_subb_u32 s9, 0, s15
	v_ashrrev_i32_e32 v10, 31, v7
	v_fmamk_f32 v3, v4, 0x4f800000, v3
	v_rcp_f32_e32 v3, v3
	v_mov_b32_e32 v11, v10
	v_mov_b32_e32 v13, v8
	v_mul_f32_e32 v3, 0x5f7ffffc, v3
	v_mul_f32_e32 v4, 0x2f800000, v3
	v_trunc_f32_e32 v4, v4
	v_fmamk_f32 v3, v4, 0xcf800000, v3
	v_cvt_u32_f32_e32 v4, v4
	v_cvt_u32_f32_e32 v3, v3
	v_readfirstlane_b32 s11, v4
	v_readfirstlane_b32 s6, v3
	s_mul_i32 s7, s8, s11
	s_mul_hi_u32 s17, s8, s6
	s_mul_i32 s16, s9, s6
	s_add_i32 s7, s17, s7
	s_add_i32 s7, s7, s16
	s_mul_i32 s18, s8, s6
	s_mul_i32 s17, s6, s7
	s_mul_hi_u32 s19, s6, s18
	s_mul_hi_u32 s16, s6, s7
	s_add_u32 s17, s19, s17
	s_addc_u32 s16, 0, s16
	s_mul_hi_u32 s20, s11, s18
	s_mul_i32 s18, s11, s18
	s_add_u32 s17, s17, s18
	s_mul_hi_u32 s19, s11, s7
	s_addc_u32 s16, s16, s20
	s_addc_u32 s17, s19, 0
	s_mul_i32 s7, s11, s7
	s_add_u32 s7, s16, s7
	s_addc_u32 s16, 0, s17
	s_add_u32 s17, s6, s7
	s_cselect_b64 s[6:7], -1, 0
	s_cmp_lg_u64 s[6:7], 0
	s_addc_u32 s11, s11, s16
	s_mul_i32 s6, s8, s11
	s_mul_hi_u32 s7, s8, s17
	s_add_i32 s6, s7, s6
	s_mul_i32 s9, s9, s17
	s_add_i32 s6, s6, s9
	s_mul_i32 s8, s8, s17
	s_mul_hi_u32 s9, s11, s8
	s_mul_i32 s16, s11, s8
	s_mul_i32 s19, s17, s6
	s_mul_hi_u32 s8, s17, s8
	s_mul_hi_u32 s18, s17, s6
	s_add_u32 s8, s8, s19
	s_addc_u32 s18, 0, s18
	s_add_u32 s8, s8, s16
	s_mul_hi_u32 s7, s11, s6
	s_addc_u32 s8, s18, s9
	s_addc_u32 s7, s7, 0
	s_mul_i32 s6, s11, s6
	s_add_u32 s6, s8, s6
	s_addc_u32 s8, 0, s7
	s_add_u32 s9, s17, s6
	s_cselect_b64 s[6:7], -1, 0
	s_cmp_lg_u64 s[6:7], 0
	v_lshl_add_u64 v[4:5], v[6:7], 0, v[10:11]
	s_addc_u32 s8, s11, s8
	v_xor_b32_e32 v9, v4, v10
	v_xor_b32_e32 v3, v5, v10
	v_mad_u64_u32 v[4:5], s[6:7], v9, s8, 0
	v_mul_hi_u32 v12, v9, s9
	v_lshl_add_u64 v[4:5], v[12:13], 0, v[4:5]
	v_mad_u64_u32 v[14:15], s[6:7], v3, s9, 0
	v_add_co_u32_e32 v4, vcc, v4, v14
	v_mad_u64_u32 v[12:13], s[6:7], v3, s8, 0
	s_nop 0
	v_addc_co_u32_e32 v4, vcc, v5, v15, vcc
	v_mov_b32_e32 v5, v8
	s_nop 0
	v_addc_co_u32_e32 v13, vcc, 0, v13, vcc
	v_lshl_add_u64 v[4:5], v[4:5], 0, v[12:13]
	v_mul_lo_u32 v8, s15, v4
	v_mul_lo_u32 v11, s14, v5
	v_mad_u64_u32 v[4:5], s[6:7], s14, v4, 0
	v_add3_u32 v5, v5, v11, v8
	v_sub_u32_e32 v8, v3, v5
	v_mov_b32_e32 v11, s15
	v_sub_co_u32_e32 v4, vcc, v9, v4
	s_nop 1
	v_subb_co_u32_e64 v8, s[6:7], v8, v11, vcc
	v_subrev_co_u32_e64 v9, s[6:7], s14, v4
	v_subb_co_u32_e32 v3, vcc, v3, v5, vcc
	s_nop 0
	v_subbrev_co_u32_e64 v12, s[8:9], 0, v8, s[6:7]
	v_cmp_le_u32_e64 s[8:9], s15, v12
	v_subb_co_u32_e64 v8, s[6:7], v8, v11, s[6:7]
	s_nop 0
	v_cndmask_b32_e64 v13, 0, -1, s[8:9]
	v_cmp_le_u32_e64 s[8:9], s14, v9
	v_subrev_co_u32_e64 v11, s[6:7], s14, v9
	s_nop 0
	v_cndmask_b32_e64 v14, 0, -1, s[8:9]
	v_cmp_eq_u32_e64 s[8:9], s15, v12
	v_subbrev_co_u32_e64 v8, s[6:7], 0, v8, s[6:7]
	s_nop 0
	v_cndmask_b32_e64 v13, v13, v14, s[8:9]
	v_cmp_le_u32_e32 vcc, s15, v3
	v_cmp_ne_u32_e64 s[6:7], 0, v13
	s_nop 0
	v_cndmask_b32_e64 v5, 0, -1, vcc
	v_cmp_le_u32_e32 vcc, s14, v4
	v_cndmask_b32_e64 v8, v12, v8, s[6:7]
	s_nop 0
	v_cndmask_b32_e64 v12, 0, -1, vcc
	v_cmp_eq_u32_e32 vcc, s15, v3
	s_nop 1
	v_cndmask_b32_e32 v5, v5, v12, vcc
	v_cmp_ne_u32_e32 vcc, 0, v5
	v_cndmask_b32_e64 v5, v9, v11, s[6:7]
	s_nop 0
	v_cndmask_b32_e32 v4, v4, v5, vcc
	v_cndmask_b32_e32 v3, v3, v8, vcc
	v_xor_b32_e32 v4, v4, v10
	v_xor_b32_e32 v3, v3, v10
	v_sub_co_u32_e32 v4, vcc, v4, v10
	s_nop 1
	v_subb_co_u32_e32 v5, vcc, v3, v10, vcc
.LBB61_7:
	s_or_saveexec_b64 s[6:7], s[12:13]
	s_load_dwordx2 s[44:45], s[0:1], 0xa8
	s_load_dwordx8 s[24:31], s[0:1], 0x88
	s_xor_b64 exec, exec, s[6:7]
	s_cbranch_execz .LBB61_9
; %bb.8:
	v_cvt_f32_u32_e32 v3, s10
	s_sub_i32 s8, 0, s10
	v_mov_b32_e32 v5, 0
	v_rcp_iflag_f32_e32 v3, v3
	s_nop 0
	v_mul_f32_e32 v3, 0x4f7ffffe, v3
	v_cvt_u32_f32_e32 v3, v3
	v_mul_lo_u32 v4, s8, v3
	v_mul_hi_u32 v4, v3, v4
	v_add_u32_e32 v3, v3, v4
	v_mul_hi_u32 v3, v6, v3
	v_mul_lo_u32 v3, v3, s10
	v_sub_u32_e32 v3, v6, v3
	v_subrev_u32_e32 v4, s10, v3
	v_cmp_le_u32_e32 vcc, s10, v3
	s_nop 1
	v_cndmask_b32_e32 v3, v3, v4, vcc
	v_subrev_u32_e32 v4, s10, v3
	v_cmp_le_u32_e32 vcc, s10, v3
	s_nop 1
	v_cndmask_b32_e32 v4, v3, v4, vcc
.LBB61_9:
	s_or_b64 exec, exec, s[6:7]
	s_load_dwordx2 s[46:47], s[0:1], 0x58
	s_load_dwordx2 s[48:49], s[0:1], 0x0
	v_or_b32_e32 v11, s5, v1
	v_mov_b32_e32 v10, 0
	v_cmp_ne_u64_e32 vcc, 0, v[10:11]
                                        ; implicit-def: $vgpr8_vgpr9
	s_and_saveexec_b64 s[6:7], vcc
	s_xor_b64 s[8:9], exec, s[6:7]
	s_cbranch_execz .LBB61_11
; %bb.10:
	s_ashr_i32 s10, s5, 31
	s_add_u32 s6, s2, s10
	s_mov_b32 s11, s10
	s_addc_u32 s7, s5, s10
	s_xor_b64 s[12:13], s[6:7], s[10:11]
	v_cvt_f32_u32_e32 v3, s12
	v_cvt_f32_u32_e32 v8, s13
	s_sub_u32 s5, 0, s12
	s_subb_u32 s11, 0, s13
	v_mov_b32_e32 v13, v10
	v_fmamk_f32 v3, v8, 0x4f800000, v3
	v_rcp_f32_e32 v3, v3
	s_nop 0
	v_mul_f32_e32 v3, 0x5f7ffffc, v3
	v_mul_f32_e32 v8, 0x2f800000, v3
	v_trunc_f32_e32 v8, v8
	v_fmamk_f32 v3, v8, 0xcf800000, v3
	v_cvt_u32_f32_e32 v8, v8
	v_cvt_u32_f32_e32 v3, v3
	v_readfirstlane_b32 s14, v8
	v_readfirstlane_b32 s6, v3
	s_mul_i32 s7, s5, s14
	s_mul_hi_u32 s16, s5, s6
	s_mul_i32 s15, s11, s6
	s_add_i32 s7, s16, s7
	s_add_i32 s7, s7, s15
	s_mul_i32 s17, s5, s6
	s_mul_i32 s16, s6, s7
	s_mul_hi_u32 s18, s6, s17
	s_mul_hi_u32 s15, s6, s7
	s_add_u32 s16, s18, s16
	s_addc_u32 s15, 0, s15
	s_mul_hi_u32 s19, s14, s17
	s_mul_i32 s17, s14, s17
	s_add_u32 s16, s16, s17
	s_mul_hi_u32 s18, s14, s7
	s_addc_u32 s15, s15, s19
	s_addc_u32 s16, s18, 0
	s_mul_i32 s7, s14, s7
	s_add_u32 s7, s15, s7
	s_addc_u32 s15, 0, s16
	s_add_u32 s16, s6, s7
	s_cselect_b64 s[6:7], -1, 0
	s_cmp_lg_u64 s[6:7], 0
	s_addc_u32 s14, s14, s15
	s_mul_i32 s6, s5, s14
	s_mul_hi_u32 s7, s5, s16
	s_add_i32 s6, s7, s6
	s_mul_i32 s11, s11, s16
	s_add_i32 s6, s6, s11
	s_mul_i32 s5, s5, s16
	s_mul_hi_u32 s11, s14, s5
	s_mul_i32 s15, s14, s5
	s_mul_i32 s18, s16, s6
	s_mul_hi_u32 s5, s16, s5
	s_mul_hi_u32 s17, s16, s6
	s_add_u32 s5, s5, s18
	s_addc_u32 s17, 0, s17
	s_add_u32 s5, s5, s15
	s_mul_hi_u32 s7, s14, s6
	s_addc_u32 s5, s17, s11
	s_addc_u32 s7, s7, 0
	s_mul_i32 s6, s14, s6
	s_add_u32 s5, s5, s6
	s_addc_u32 s11, 0, s7
	s_add_u32 s5, s16, s5
	s_cselect_b64 s[6:7], -1, 0
	v_mov_b32_e32 v3, v2
	s_cmp_lg_u64 s[6:7], 0
	v_lshl_add_u64 v[8:9], v[0:1], 0, v[2:3]
	s_addc_u32 s11, s14, s11
	v_xor_b32_e32 v16, v8, v2
	v_xor_b32_e32 v3, v9, v2
	v_mad_u64_u32 v[8:9], s[6:7], v16, s11, 0
	v_mul_hi_u32 v12, v16, s5
	v_lshl_add_u64 v[8:9], v[12:13], 0, v[8:9]
	v_mad_u64_u32 v[14:15], s[6:7], v3, s5, 0
	v_add_co_u32_e32 v8, vcc, v8, v14
	v_mad_u64_u32 v[12:13], s[6:7], v3, s11, 0
	s_nop 0
	v_addc_co_u32_e32 v8, vcc, v9, v15, vcc
	v_mov_b32_e32 v9, v10
	s_nop 0
	v_addc_co_u32_e32 v13, vcc, 0, v13, vcc
	v_lshl_add_u64 v[8:9], v[8:9], 0, v[12:13]
	v_mul_lo_u32 v12, s13, v8
	v_mul_lo_u32 v13, s12, v9
	v_mad_u64_u32 v[10:11], s[6:7], s12, v8, 0
	v_add3_u32 v14, v11, v13, v12
	v_sub_u32_e32 v11, v3, v14
	v_mov_b32_e32 v12, s13
	v_sub_co_u32_e32 v15, vcc, v16, v10
	v_xor_b32_e32 v2, s10, v2
	s_nop 0
	v_subb_co_u32_e64 v10, s[6:7], v11, v12, vcc
	v_subrev_co_u32_e64 v11, s[6:7], s12, v15
	v_subb_co_u32_e32 v3, vcc, v3, v14, vcc
	s_nop 0
	v_subbrev_co_u32_e64 v10, s[6:7], 0, v10, s[6:7]
	v_cmp_le_u32_e64 s[6:7], s13, v10
	v_cmp_le_u32_e32 vcc, s13, v3
	s_nop 0
	v_cndmask_b32_e64 v12, 0, -1, s[6:7]
	v_cmp_le_u32_e64 s[6:7], s12, v11
	s_nop 1
	v_cndmask_b32_e64 v11, 0, -1, s[6:7]
	v_cmp_eq_u32_e64 s[6:7], s13, v10
	s_nop 1
	v_cndmask_b32_e64 v16, v12, v11, s[6:7]
	v_lshl_add_u64 v[10:11], v[8:9], 0, 2
	v_lshl_add_u64 v[12:13], v[8:9], 0, 1
	v_cmp_ne_u32_e64 s[6:7], 0, v16
	s_nop 1
	v_cndmask_b32_e64 v11, v13, v11, s[6:7]
	v_cndmask_b32_e64 v13, 0, -1, vcc
	v_cmp_le_u32_e32 vcc, s12, v15
	s_nop 1
	v_cndmask_b32_e64 v14, 0, -1, vcc
	v_cmp_eq_u32_e32 vcc, s13, v3
	s_nop 1
	v_cndmask_b32_e32 v3, v13, v14, vcc
	v_cmp_ne_u32_e32 vcc, 0, v3
	s_nop 1
	v_cndmask_b32_e32 v3, v9, v11, vcc
	v_cndmask_b32_e64 v9, v12, v10, s[6:7]
	v_cndmask_b32_e32 v8, v8, v9, vcc
	v_xor_b32_e32 v8, v8, v2
	v_xor_b32_e32 v3, v3, v2
	v_sub_co_u32_e32 v8, vcc, v8, v2
	s_nop 1
	v_subb_co_u32_e32 v9, vcc, v3, v2, vcc
.LBB61_11:
	s_or_saveexec_b64 s[6:7], s[8:9]
	s_load_dwordx16 s[8:23], s[0:1], 0x18
	s_xor_b64 exec, exec, s[6:7]
	s_cbranch_execz .LBB61_13
; %bb.12:
	v_cvt_f32_u32_e32 v2, s2
	s_sub_i32 s5, 0, s2
	v_rcp_iflag_f32_e32 v2, v2
	s_nop 0
	v_mul_f32_e32 v2, 0x4f7ffffe, v2
	v_cvt_u32_f32_e32 v2, v2
	v_mul_lo_u32 v3, s5, v2
	v_mul_hi_u32 v3, v2, v3
	v_add_u32_e32 v2, v2, v3
	v_mul_hi_u32 v2, v0, v2
	v_mul_lo_u32 v3, v2, s2
	v_sub_u32_e32 v3, v0, v3
	v_add_u32_e32 v8, 1, v2
	v_subrev_u32_e32 v9, s2, v3
	v_cmp_le_u32_e32 vcc, s2, v3
	s_nop 1
	v_cndmask_b32_e32 v3, v3, v9, vcc
	v_cndmask_b32_e32 v2, v2, v8, vcc
	v_add_u32_e32 v8, 1, v2
	v_cmp_le_u32_e32 vcc, s2, v3
	v_mov_b32_e32 v9, 0
	s_nop 0
	v_cndmask_b32_e32 v8, v2, v8, vcc
.LBB61_13:
	s_or_b64 exec, exec, s[6:7]
	s_load_dwordx8 s[36:43], s[0:1], 0xb0
	v_mad_u64_u32 v[2:3], s[6:7], v6, s34, 0
	v_mul_lo_u32 v7, v7, s34
	v_mul_lo_u32 v10, v6, s35
	s_waitcnt lgkmcnt(0)
	s_sub_u32 s6, 0, s36
	s_subb_u32 s7, 0, s37
	s_sub_u32 s34, 0, s38
	s_subb_u32 s35, 0, s39
	;; [unrolled: 2-line block ×3, first 2 shown]
	v_cmp_gt_i64_e64 s[52:53], s[6:7], 0
	s_and_b64 s[52:53], s[52:53], exec
	s_cselect_b32 s2, s7, 0
	s_cselect_b32 s5, s6, 0
	v_cmp_gt_i64_e64 s[6:7], s[36:37], 0
	s_and_b64 s[6:7], s[6:7], exec
	v_cmp_gt_i64_e64 s[6:7], s[34:35], 0
	s_cselect_b32 s53, s37, 0
	s_cselect_b32 s52, s36, 0
	s_and_b64 s[6:7], s[6:7], exec
	v_add3_u32 v3, v3, v10, v7
	v_sub_co_u32_e32 v0, vcc, v0, v2
	v_cmp_gt_i64_e64 s[6:7], s[38:39], 0
	s_nop 0
	v_subb_co_u32_e32 v1, vcc, v1, v3, vcc
	s_cselect_b32 s33, s35, 0
	s_cselect_b32 s54, s34, 0
	s_and_b64 s[6:7], s[6:7], exec
	v_cmp_gt_i64_e64 s[6:7], s[50:51], 0
	v_mov_b32_e32 v2, s37
	v_subrev_co_u32_e32 v3, vcc, s36, v0
	s_cselect_b32 s35, s39, 0
	s_cselect_b32 s34, s38, 0
	s_and_b64 s[6:7], s[6:7], exec
	v_subb_co_u32_e32 v2, vcc, v1, v2, vcc
	v_cmp_gt_i64_e64 s[6:7], s[40:41], 0
	v_ashrrev_i32_e32 v6, 31, v2
	s_cselect_b32 s55, s51, 0
	s_cselect_b32 s56, s50, 0
	s_and_b64 s[6:7], s[6:7], exec
	v_xor_b32_e32 v7, v2, v6
	v_xor_b32_e32 v2, v3, v6
	s_cselect_b32 s7, s41, 0
	s_cselect_b32 s6, s40, 0
	v_sub_co_u32_e32 v2, vcc, v2, v6
	s_add_u32 s50, s36, s12
	s_nop 0
	v_subb_co_u32_e32 v3, vcc, v7, v6, vcc
	s_addc_u32 s51, s37, s13
	v_mov_b32_e32 v7, s51
	v_subrev_co_u32_e32 v6, vcc, s50, v0
	s_lshl_b64 s[36:37], s[36:37], 1
	s_nop 0
	v_subb_co_u32_e32 v7, vcc, v1, v7, vcc
	s_not_b64 s[50:51], s[52:53]
	v_lshl_add_u64 v[6:7], v[6:7], 0, 1
	s_add_u32 s36, s36, s50
	v_ashrrev_i32_e32 v10, 31, v7
	s_addc_u32 s37, s37, s51
	v_xor_b32_e32 v6, v6, v10
	s_add_u32 s5, s36, s5
	v_xor_b32_e32 v7, v7, v10
	v_sub_co_u32_e32 v6, vcc, v6, v10
	s_addc_u32 s2, s37, s2
	s_nop 0
	v_subb_co_u32_e32 v7, vcc, v7, v10, vcc
	s_add_u32 s5, s5, s12
	s_addc_u32 s2, s2, s13
	v_lshl_add_u64 v[6:7], v[0:1], 0, v[6:7]
	v_mov_b32_e32 v10, s2
	v_sub_co_u32_e32 v6, vcc, s5, v6
	s_add_u32 s2, s38, s10
	s_nop 0
	v_subb_co_u32_e32 v7, vcc, v10, v7, vcc
	v_lshl_add_u64 v[2:3], v[6:7], 0, v[2:3]
	v_mov_b32_e32 v6, s39
	v_subrev_co_u32_e32 v7, vcc, s38, v4
	s_addc_u32 s5, s39, s11
	s_nop 0
	v_subb_co_u32_e32 v6, vcc, v5, v6, vcc
	v_ashrrev_i32_e32 v10, 31, v6
	v_xor_b32_e32 v11, v6, v10
	v_xor_b32_e32 v6, v7, v10
	v_sub_co_u32_e32 v6, vcc, v6, v10
	s_lshl_b64 s[12:13], s[38:39], 1
	s_nop 0
	v_subb_co_u32_e32 v7, vcc, v11, v10, vcc
	v_mov_b32_e32 v11, s5
	v_subrev_co_u32_e32 v10, vcc, s2, v4
	s_not_b64 s[34:35], s[34:35]
	s_nop 0
	v_subb_co_u32_e32 v11, vcc, v5, v11, vcc
	v_lshl_add_u64 v[10:11], v[10:11], 0, 1
	s_add_u32 s2, s12, s34
	v_ashrrev_i32_e32 v12, 31, v11
	s_addc_u32 s5, s13, s35
	v_xor_b32_e32 v10, v10, v12
	s_add_u32 s2, s2, s54
	v_xor_b32_e32 v11, v11, v12
	v_sub_co_u32_e32 v10, vcc, v10, v12
	s_addc_u32 s5, s5, s33
	s_nop 0
	v_subb_co_u32_e32 v11, vcc, v11, v12, vcc
	s_add_u32 s2, s2, s10
	s_addc_u32 s5, s5, s11
	v_lshl_add_u64 v[10:11], v[4:5], 0, v[10:11]
	v_mov_b32_e32 v12, s5
	v_sub_co_u32_e32 v10, vcc, s2, v10
	s_add_u32 s2, s40, s8
	s_nop 0
	v_subb_co_u32_e32 v11, vcc, v12, v11, vcc
	v_lshl_add_u64 v[6:7], v[10:11], 0, v[6:7]
	v_mov_b32_e32 v10, s41
	v_subrev_co_u32_e32 v11, vcc, s40, v8
	s_addc_u32 s5, s41, s9
	s_nop 0
	v_subb_co_u32_e32 v10, vcc, v9, v10, vcc
	v_ashrrev_i32_e32 v12, 31, v10
	v_xor_b32_e32 v13, v10, v12
	v_xor_b32_e32 v10, v11, v12
	v_sub_co_u32_e32 v10, vcc, v10, v12
	s_lshl_b64 s[10:11], s[40:41], 1
	s_nop 0
	v_subb_co_u32_e32 v11, vcc, v13, v12, vcc
	s_not_b64 s[6:7], s[6:7]
	v_mov_b32_e32 v13, s5
	v_subrev_co_u32_e32 v12, vcc, s2, v8
	s_add_u32 s2, s10, s6
	s_nop 0
	v_subb_co_u32_e32 v13, vcc, v9, v13, vcc
	s_addc_u32 s5, s11, s7
	v_lshl_add_u64 v[12:13], v[12:13], 0, 1
	s_add_u32 s2, s2, s56
	s_load_dwordx2 s[0:1], s[0:1], 0xd0
	v_ashrrev_i32_e32 v14, 31, v13
	s_addc_u32 s5, s5, s55
	v_xor_b32_e32 v12, v12, v14
	s_add_u32 s2, s2, s8
	v_xor_b32_e32 v13, v13, v14
	v_sub_co_u32_e32 v12, vcc, v12, v14
	s_addc_u32 s5, s5, s9
	s_nop 0
	v_subb_co_u32_e32 v13, vcc, v13, v14, vcc
	v_mov_b32_e32 v14, s5
	s_add_u32 s5, s42, s3
	s_addc_u32 s6, s43, 0
	s_waitcnt lgkmcnt(0)
	s_add_u32 s4, s0, s4
	s_addc_u32 s7, s1, 0
	s_mul_i32 s0, s14, s7
	s_mul_hi_u32 s1, s14, s4
	s_add_i32 s0, s1, s0
	s_mul_i32 s1, s15, s4
	s_add_i32 s1, s0, s1
	s_mul_i32 s0, s14, s4
	v_lshl_add_u64 v[12:13], v[8:9], 0, v[12:13]
	s_lshl_b64 s[0:1], s[0:1], 1
	v_sub_co_u32_e32 v12, vcc, s2, v12
	s_add_u32 s2, s48, s0
	s_addc_u32 s3, s49, s1
	s_mul_i32 s0, s16, s6
	s_mul_hi_u32 s1, s16, s5
	s_add_i32 s0, s1, s0
	s_mul_i32 s1, s17, s5
	s_add_i32 s1, s0, s1
	s_mul_i32 s0, s16, s5
	v_subb_co_u32_e32 v13, vcc, v14, v13, vcc
	s_lshl_b64 s[0:1], s[0:1], 1
	v_lshl_add_u64 v[10:11], v[12:13], 0, v[10:11]
	s_add_u32 s0, s2, s0
	s_addc_u32 s1, s3, s1
	v_mul_lo_u32 v12, v11, s18
	v_mul_lo_u32 v13, v10, s19
	v_mad_u64_u32 v[10:11], s[2:3], v10, s18, 0
	v_add3_u32 v11, v11, v13, v12
	v_lshl_add_u64 v[10:11], v[10:11], 1, s[0:1]
	v_mul_lo_u32 v12, v7, s20
	v_mul_lo_u32 v13, v6, s21
	v_mad_u64_u32 v[6:7], s[0:1], v6, s20, 0
	v_add3_u32 v7, v7, v13, v12
	v_lshl_add_u64 v[6:7], v[6:7], 1, v[10:11]
	;; [unrolled: 5-line block ×3, first 2 shown]
	global_load_ushort v6, v[2:3], off
	s_mul_i32 s0, s24, s7
	s_mul_hi_u32 s1, s24, s4
	s_add_i32 s0, s1, s0
	s_mul_i32 s1, s25, s4
	s_add_i32 s1, s0, s1
	s_mul_i32 s0, s24, s4
	s_lshl_b64 s[0:1], s[0:1], 1
	s_add_u32 s2, s46, s0
	s_addc_u32 s3, s47, s1
	s_mul_i32 s0, s26, s6
	s_mul_hi_u32 s1, s26, s5
	s_add_i32 s0, s1, s0
	s_mul_i32 s1, s27, s5
	s_add_i32 s1, s0, s1
	s_mul_i32 s0, s26, s5
	s_lshl_b64 s[0:1], s[0:1], 1
	s_add_u32 s0, s2, s0
	s_addc_u32 s1, s3, s1
	v_mul_lo_u32 v7, v9, s28
	v_mul_lo_u32 v9, v8, s29
	v_mad_u64_u32 v[2:3], s[2:3], v8, s28, 0
	v_add3_u32 v3, v3, v9, v7
	v_lshl_add_u64 v[2:3], v[2:3], 1, s[0:1]
	v_mul_lo_u32 v7, v5, s30
	v_mul_lo_u32 v8, v4, s31
	v_mad_u64_u32 v[4:5], s[0:1], v4, s30, 0
	v_add3_u32 v5, v5, v8, v7
	v_lshl_add_u64 v[2:3], v[4:5], 1, v[2:3]
	;; [unrolled: 5-line block ×3, first 2 shown]
	s_waitcnt vmcnt(0)
	global_store_short v[0:1], v6, off
.LBB61_14:
	s_endpgm
	.section	.rodata,"a",@progbits
	.p2align	6, 0x0
	.amdhsa_kernel _ZN2at6native12_GLOBAL__N_127reflection_pad3d_out_kernelIsEEvN5torch10headeronly6detail27GenericPackedTensorAccessorINS5_14TensorAccessorIN3c108ArrayRefIlEEKT_Lm4ENS4_16DefaultPtrTraitsElEENS_6detail16IndexBoundsCheckILm5ElEESC_Lm5ESD_lEENS6_INS7_ISA_SB_Lm4ESD_lEESH_SB_Lm5ESD_lEElllll
		.amdhsa_group_segment_fixed_size 0
		.amdhsa_private_segment_fixed_size 0
		.amdhsa_kernarg_size 472
		.amdhsa_user_sgpr_count 2
		.amdhsa_user_sgpr_dispatch_ptr 0
		.amdhsa_user_sgpr_queue_ptr 0
		.amdhsa_user_sgpr_kernarg_segment_ptr 1
		.amdhsa_user_sgpr_dispatch_id 0
		.amdhsa_user_sgpr_kernarg_preload_length 0
		.amdhsa_user_sgpr_kernarg_preload_offset 0
		.amdhsa_user_sgpr_private_segment_size 0
		.amdhsa_uses_dynamic_stack 0
		.amdhsa_enable_private_segment 0
		.amdhsa_system_sgpr_workgroup_id_x 1
		.amdhsa_system_sgpr_workgroup_id_y 1
		.amdhsa_system_sgpr_workgroup_id_z 1
		.amdhsa_system_sgpr_workgroup_info 0
		.amdhsa_system_vgpr_workitem_id 0
		.amdhsa_next_free_vgpr 17
		.amdhsa_next_free_sgpr 57
		.amdhsa_accum_offset 20
		.amdhsa_reserve_vcc 1
		.amdhsa_float_round_mode_32 0
		.amdhsa_float_round_mode_16_64 0
		.amdhsa_float_denorm_mode_32 3
		.amdhsa_float_denorm_mode_16_64 3
		.amdhsa_dx10_clamp 1
		.amdhsa_ieee_mode 1
		.amdhsa_fp16_overflow 0
		.amdhsa_tg_split 0
		.amdhsa_exception_fp_ieee_invalid_op 0
		.amdhsa_exception_fp_denorm_src 0
		.amdhsa_exception_fp_ieee_div_zero 0
		.amdhsa_exception_fp_ieee_overflow 0
		.amdhsa_exception_fp_ieee_underflow 0
		.amdhsa_exception_fp_ieee_inexact 0
		.amdhsa_exception_int_div_zero 0
	.end_amdhsa_kernel
	.section	.text._ZN2at6native12_GLOBAL__N_127reflection_pad3d_out_kernelIsEEvN5torch10headeronly6detail27GenericPackedTensorAccessorINS5_14TensorAccessorIN3c108ArrayRefIlEEKT_Lm4ENS4_16DefaultPtrTraitsElEENS_6detail16IndexBoundsCheckILm5ElEESC_Lm5ESD_lEENS6_INS7_ISA_SB_Lm4ESD_lEESH_SB_Lm5ESD_lEElllll,"axG",@progbits,_ZN2at6native12_GLOBAL__N_127reflection_pad3d_out_kernelIsEEvN5torch10headeronly6detail27GenericPackedTensorAccessorINS5_14TensorAccessorIN3c108ArrayRefIlEEKT_Lm4ENS4_16DefaultPtrTraitsElEENS_6detail16IndexBoundsCheckILm5ElEESC_Lm5ESD_lEENS6_INS7_ISA_SB_Lm4ESD_lEESH_SB_Lm5ESD_lEElllll,comdat
.Lfunc_end61:
	.size	_ZN2at6native12_GLOBAL__N_127reflection_pad3d_out_kernelIsEEvN5torch10headeronly6detail27GenericPackedTensorAccessorINS5_14TensorAccessorIN3c108ArrayRefIlEEKT_Lm4ENS4_16DefaultPtrTraitsElEENS_6detail16IndexBoundsCheckILm5ElEESC_Lm5ESD_lEENS6_INS7_ISA_SB_Lm4ESD_lEESH_SB_Lm5ESD_lEElllll, .Lfunc_end61-_ZN2at6native12_GLOBAL__N_127reflection_pad3d_out_kernelIsEEvN5torch10headeronly6detail27GenericPackedTensorAccessorINS5_14TensorAccessorIN3c108ArrayRefIlEEKT_Lm4ENS4_16DefaultPtrTraitsElEENS_6detail16IndexBoundsCheckILm5ElEESC_Lm5ESD_lEENS6_INS7_ISA_SB_Lm4ESD_lEESH_SB_Lm5ESD_lEElllll
                                        ; -- End function
	.set _ZN2at6native12_GLOBAL__N_127reflection_pad3d_out_kernelIsEEvN5torch10headeronly6detail27GenericPackedTensorAccessorINS5_14TensorAccessorIN3c108ArrayRefIlEEKT_Lm4ENS4_16DefaultPtrTraitsElEENS_6detail16IndexBoundsCheckILm5ElEESC_Lm5ESD_lEENS6_INS7_ISA_SB_Lm4ESD_lEESH_SB_Lm5ESD_lEElllll.num_vgpr, 17
	.set _ZN2at6native12_GLOBAL__N_127reflection_pad3d_out_kernelIsEEvN5torch10headeronly6detail27GenericPackedTensorAccessorINS5_14TensorAccessorIN3c108ArrayRefIlEEKT_Lm4ENS4_16DefaultPtrTraitsElEENS_6detail16IndexBoundsCheckILm5ElEESC_Lm5ESD_lEENS6_INS7_ISA_SB_Lm4ESD_lEESH_SB_Lm5ESD_lEElllll.num_agpr, 0
	.set _ZN2at6native12_GLOBAL__N_127reflection_pad3d_out_kernelIsEEvN5torch10headeronly6detail27GenericPackedTensorAccessorINS5_14TensorAccessorIN3c108ArrayRefIlEEKT_Lm4ENS4_16DefaultPtrTraitsElEENS_6detail16IndexBoundsCheckILm5ElEESC_Lm5ESD_lEENS6_INS7_ISA_SB_Lm4ESD_lEESH_SB_Lm5ESD_lEElllll.numbered_sgpr, 57
	.set _ZN2at6native12_GLOBAL__N_127reflection_pad3d_out_kernelIsEEvN5torch10headeronly6detail27GenericPackedTensorAccessorINS5_14TensorAccessorIN3c108ArrayRefIlEEKT_Lm4ENS4_16DefaultPtrTraitsElEENS_6detail16IndexBoundsCheckILm5ElEESC_Lm5ESD_lEENS6_INS7_ISA_SB_Lm4ESD_lEESH_SB_Lm5ESD_lEElllll.num_named_barrier, 0
	.set _ZN2at6native12_GLOBAL__N_127reflection_pad3d_out_kernelIsEEvN5torch10headeronly6detail27GenericPackedTensorAccessorINS5_14TensorAccessorIN3c108ArrayRefIlEEKT_Lm4ENS4_16DefaultPtrTraitsElEENS_6detail16IndexBoundsCheckILm5ElEESC_Lm5ESD_lEENS6_INS7_ISA_SB_Lm4ESD_lEESH_SB_Lm5ESD_lEElllll.private_seg_size, 0
	.set _ZN2at6native12_GLOBAL__N_127reflection_pad3d_out_kernelIsEEvN5torch10headeronly6detail27GenericPackedTensorAccessorINS5_14TensorAccessorIN3c108ArrayRefIlEEKT_Lm4ENS4_16DefaultPtrTraitsElEENS_6detail16IndexBoundsCheckILm5ElEESC_Lm5ESD_lEENS6_INS7_ISA_SB_Lm4ESD_lEESH_SB_Lm5ESD_lEElllll.uses_vcc, 1
	.set _ZN2at6native12_GLOBAL__N_127reflection_pad3d_out_kernelIsEEvN5torch10headeronly6detail27GenericPackedTensorAccessorINS5_14TensorAccessorIN3c108ArrayRefIlEEKT_Lm4ENS4_16DefaultPtrTraitsElEENS_6detail16IndexBoundsCheckILm5ElEESC_Lm5ESD_lEENS6_INS7_ISA_SB_Lm4ESD_lEESH_SB_Lm5ESD_lEElllll.uses_flat_scratch, 0
	.set _ZN2at6native12_GLOBAL__N_127reflection_pad3d_out_kernelIsEEvN5torch10headeronly6detail27GenericPackedTensorAccessorINS5_14TensorAccessorIN3c108ArrayRefIlEEKT_Lm4ENS4_16DefaultPtrTraitsElEENS_6detail16IndexBoundsCheckILm5ElEESC_Lm5ESD_lEENS6_INS7_ISA_SB_Lm4ESD_lEESH_SB_Lm5ESD_lEElllll.has_dyn_sized_stack, 0
	.set _ZN2at6native12_GLOBAL__N_127reflection_pad3d_out_kernelIsEEvN5torch10headeronly6detail27GenericPackedTensorAccessorINS5_14TensorAccessorIN3c108ArrayRefIlEEKT_Lm4ENS4_16DefaultPtrTraitsElEENS_6detail16IndexBoundsCheckILm5ElEESC_Lm5ESD_lEENS6_INS7_ISA_SB_Lm4ESD_lEESH_SB_Lm5ESD_lEElllll.has_recursion, 0
	.set _ZN2at6native12_GLOBAL__N_127reflection_pad3d_out_kernelIsEEvN5torch10headeronly6detail27GenericPackedTensorAccessorINS5_14TensorAccessorIN3c108ArrayRefIlEEKT_Lm4ENS4_16DefaultPtrTraitsElEENS_6detail16IndexBoundsCheckILm5ElEESC_Lm5ESD_lEENS6_INS7_ISA_SB_Lm4ESD_lEESH_SB_Lm5ESD_lEElllll.has_indirect_call, 0
	.section	.AMDGPU.csdata,"",@progbits
; Kernel info:
; codeLenInByte = 3652
; TotalNumSgprs: 63
; NumVgprs: 17
; NumAgprs: 0
; TotalNumVgprs: 17
; ScratchSize: 0
; MemoryBound: 0
; FloatMode: 240
; IeeeMode: 1
; LDSByteSize: 0 bytes/workgroup (compile time only)
; SGPRBlocks: 7
; VGPRBlocks: 2
; NumSGPRsForWavesPerEU: 63
; NumVGPRsForWavesPerEU: 17
; AccumOffset: 20
; Occupancy: 8
; WaveLimiterHint : 0
; COMPUTE_PGM_RSRC2:SCRATCH_EN: 0
; COMPUTE_PGM_RSRC2:USER_SGPR: 2
; COMPUTE_PGM_RSRC2:TRAP_HANDLER: 0
; COMPUTE_PGM_RSRC2:TGID_X_EN: 1
; COMPUTE_PGM_RSRC2:TGID_Y_EN: 1
; COMPUTE_PGM_RSRC2:TGID_Z_EN: 1
; COMPUTE_PGM_RSRC2:TIDIG_COMP_CNT: 0
; COMPUTE_PGM_RSRC3_GFX90A:ACCUM_OFFSET: 4
; COMPUTE_PGM_RSRC3_GFX90A:TG_SPLIT: 0
	.section	.text._ZN2at6native12_GLOBAL__N_127reflection_pad3d_out_kernelIdEEvN5torch10headeronly6detail27GenericPackedTensorAccessorINS5_14TensorAccessorIN3c108ArrayRefIlEEKT_Lm4ENS4_16DefaultPtrTraitsElEENS_6detail16IndexBoundsCheckILm5ElEESC_Lm5ESD_lEENS6_INS7_ISA_SB_Lm4ESD_lEESH_SB_Lm5ESD_lEElllll,"axG",@progbits,_ZN2at6native12_GLOBAL__N_127reflection_pad3d_out_kernelIdEEvN5torch10headeronly6detail27GenericPackedTensorAccessorINS5_14TensorAccessorIN3c108ArrayRefIlEEKT_Lm4ENS4_16DefaultPtrTraitsElEENS_6detail16IndexBoundsCheckILm5ElEESC_Lm5ESD_lEENS6_INS7_ISA_SB_Lm4ESD_lEESH_SB_Lm5ESD_lEElllll,comdat
	.globl	_ZN2at6native12_GLOBAL__N_127reflection_pad3d_out_kernelIdEEvN5torch10headeronly6detail27GenericPackedTensorAccessorINS5_14TensorAccessorIN3c108ArrayRefIlEEKT_Lm4ENS4_16DefaultPtrTraitsElEENS_6detail16IndexBoundsCheckILm5ElEESC_Lm5ESD_lEENS6_INS7_ISA_SB_Lm4ESD_lEESH_SB_Lm5ESD_lEElllll ; -- Begin function _ZN2at6native12_GLOBAL__N_127reflection_pad3d_out_kernelIdEEvN5torch10headeronly6detail27GenericPackedTensorAccessorINS5_14TensorAccessorIN3c108ArrayRefIlEEKT_Lm4ENS4_16DefaultPtrTraitsElEENS_6detail16IndexBoundsCheckILm5ElEESC_Lm5ESD_lEENS6_INS7_ISA_SB_Lm4ESD_lEESH_SB_Lm5ESD_lEElllll
	.p2align	8
	.type	_ZN2at6native12_GLOBAL__N_127reflection_pad3d_out_kernelIdEEvN5torch10headeronly6detail27GenericPackedTensorAccessorINS5_14TensorAccessorIN3c108ArrayRefIlEEKT_Lm4ENS4_16DefaultPtrTraitsElEENS_6detail16IndexBoundsCheckILm5ElEESC_Lm5ESD_lEENS6_INS7_ISA_SB_Lm4ESD_lEESH_SB_Lm5ESD_lEElllll,@function
_ZN2at6native12_GLOBAL__N_127reflection_pad3d_out_kernelIdEEvN5torch10headeronly6detail27GenericPackedTensorAccessorINS5_14TensorAccessorIN3c108ArrayRefIlEEKT_Lm4ENS4_16DefaultPtrTraitsElEENS_6detail16IndexBoundsCheckILm5ElEESC_Lm5ESD_lEENS6_INS7_ISA_SB_Lm4ESD_lEESH_SB_Lm5ESD_lEElllll: ; @_ZN2at6native12_GLOBAL__N_127reflection_pad3d_out_kernelIdEEvN5torch10headeronly6detail27GenericPackedTensorAccessorINS5_14TensorAccessorIN3c108ArrayRefIlEEKT_Lm4ENS4_16DefaultPtrTraitsElEENS_6detail16IndexBoundsCheckILm5ElEESC_Lm5ESD_lEENS6_INS7_ISA_SB_Lm4ESD_lEESH_SB_Lm5ESD_lEElllll
; %bb.0:
	s_load_dword s5, s[0:1], 0xe4
	s_load_dwordx4 s[8:11], s[0:1], 0x70
	s_load_dwordx2 s[34:35], s[0:1], 0x80
	v_mov_b32_e32 v2, 0
	v_mov_b32_e32 v1, v2
	s_waitcnt lgkmcnt(0)
	s_and_b32 s5, s5, 0xffff
	v_mov_b32_e32 v3, s2
	v_mad_u64_u32 v[0:1], s[6:7], s5, v3, v[0:1]
	s_mul_i32 s2, s34, s11
	s_mul_hi_u32 s5, s34, s10
	s_add_i32 s5, s5, s2
	s_mul_i32 s2, s35, s10
	s_add_i32 s5, s5, s2
	s_mul_i32 s2, s34, s10
	s_mul_i32 s6, s2, s9
	s_mul_hi_u32 s7, s2, s8
	s_add_i32 s6, s7, s6
	s_mul_i32 s7, s5, s8
	s_add_i32 s7, s6, s7
	s_mul_i32 s6, s2, s8
	v_cmp_gt_i64_e32 vcc, s[6:7], v[0:1]
	s_and_saveexec_b64 s[6:7], vcc
	s_cbranch_execz .LBB62_14
; %bb.1:
	v_or_b32_e32 v3, s35, v1
	v_cmp_ne_u64_e32 vcc, 0, v[2:3]
	v_ashrrev_i32_e32 v2, 31, v1
                                        ; implicit-def: $vgpr6_vgpr7
	s_and_saveexec_b64 s[6:7], vcc
	s_xor_b64 s[8:9], exec, s[6:7]
	s_cbranch_execz .LBB62_3
; %bb.2:
	s_ashr_i32 s12, s35, 31
	s_add_u32 s6, s34, s12
	s_mov_b32 s13, s12
	s_addc_u32 s7, s35, s12
	s_xor_b64 s[14:15], s[6:7], s[12:13]
	v_cvt_f32_u32_e32 v3, s14
	v_cvt_f32_u32_e32 v4, s15
	s_sub_u32 s13, 0, s14
	s_subb_u32 s16, 0, s15
	v_mov_b32_e32 v7, 0
	v_fmamk_f32 v3, v4, 0x4f800000, v3
	v_rcp_f32_e32 v3, v3
	s_nop 0
	v_mul_f32_e32 v3, 0x5f7ffffc, v3
	v_mul_f32_e32 v4, 0x2f800000, v3
	v_trunc_f32_e32 v4, v4
	v_fmamk_f32 v3, v4, 0xcf800000, v3
	v_cvt_u32_f32_e32 v4, v4
	v_cvt_u32_f32_e32 v3, v3
	v_readfirstlane_b32 s17, v4
	v_readfirstlane_b32 s6, v3
	s_mul_i32 s7, s13, s17
	s_mul_hi_u32 s19, s13, s6
	s_mul_i32 s18, s16, s6
	s_add_i32 s7, s19, s7
	s_add_i32 s7, s7, s18
	s_mul_i32 s20, s13, s6
	s_mul_i32 s19, s6, s7
	s_mul_hi_u32 s21, s6, s20
	s_mul_hi_u32 s18, s6, s7
	s_add_u32 s19, s21, s19
	s_addc_u32 s18, 0, s18
	s_mul_hi_u32 s22, s17, s20
	s_mul_i32 s20, s17, s20
	s_add_u32 s19, s19, s20
	s_mul_hi_u32 s21, s17, s7
	s_addc_u32 s18, s18, s22
	s_addc_u32 s19, s21, 0
	s_mul_i32 s7, s17, s7
	s_add_u32 s7, s18, s7
	s_addc_u32 s18, 0, s19
	s_add_u32 s19, s6, s7
	s_cselect_b64 s[6:7], -1, 0
	s_cmp_lg_u64 s[6:7], 0
	s_addc_u32 s17, s17, s18
	s_mul_i32 s6, s13, s17
	s_mul_hi_u32 s7, s13, s19
	s_add_i32 s6, s7, s6
	s_mul_i32 s16, s16, s19
	s_add_i32 s6, s6, s16
	s_mul_i32 s13, s13, s19
	s_mul_hi_u32 s16, s17, s13
	s_mul_i32 s18, s17, s13
	s_mul_i32 s21, s19, s6
	s_mul_hi_u32 s13, s19, s13
	s_mul_hi_u32 s20, s19, s6
	s_add_u32 s13, s13, s21
	s_addc_u32 s20, 0, s20
	s_add_u32 s13, s13, s18
	s_mul_hi_u32 s7, s17, s6
	s_addc_u32 s13, s20, s16
	s_addc_u32 s7, s7, 0
	s_mul_i32 s6, s17, s6
	s_add_u32 s6, s13, s6
	s_addc_u32 s13, 0, s7
	s_add_u32 s16, s19, s6
	s_cselect_b64 s[6:7], -1, 0
	v_mov_b32_e32 v3, v2
	s_cmp_lg_u64 s[6:7], 0
	v_lshl_add_u64 v[4:5], v[0:1], 0, v[2:3]
	s_addc_u32 s13, s17, s13
	v_xor_b32_e32 v12, v4, v2
	v_xor_b32_e32 v3, v5, v2
	v_mad_u64_u32 v[4:5], s[6:7], v12, s13, 0
	v_mul_hi_u32 v6, v12, s16
	v_lshl_add_u64 v[4:5], v[6:7], 0, v[4:5]
	v_mad_u64_u32 v[10:11], s[6:7], v3, s16, 0
	v_add_co_u32_e32 v4, vcc, v4, v10
	v_mad_u64_u32 v[8:9], s[6:7], v3, s13, 0
	s_nop 0
	v_addc_co_u32_e32 v6, vcc, v5, v11, vcc
	s_nop 1
	v_addc_co_u32_e32 v9, vcc, 0, v9, vcc
	v_lshl_add_u64 v[4:5], v[6:7], 0, v[8:9]
	v_mul_lo_u32 v8, s15, v4
	v_mul_lo_u32 v9, s14, v5
	v_mad_u64_u32 v[6:7], s[6:7], s14, v4, 0
	v_add3_u32 v10, v7, v9, v8
	v_sub_u32_e32 v7, v3, v10
	v_mov_b32_e32 v8, s15
	v_sub_co_u32_e32 v11, vcc, v12, v6
	s_nop 1
	v_subb_co_u32_e64 v6, s[6:7], v7, v8, vcc
	v_subrev_co_u32_e64 v7, s[6:7], s14, v11
	v_subb_co_u32_e32 v3, vcc, v3, v10, vcc
	s_nop 0
	v_subbrev_co_u32_e64 v6, s[6:7], 0, v6, s[6:7]
	v_cmp_le_u32_e64 s[6:7], s15, v6
	v_cmp_le_u32_e32 vcc, s15, v3
	s_nop 0
	v_cndmask_b32_e64 v8, 0, -1, s[6:7]
	v_cmp_le_u32_e64 s[6:7], s14, v7
	s_nop 1
	v_cndmask_b32_e64 v7, 0, -1, s[6:7]
	v_cmp_eq_u32_e64 s[6:7], s15, v6
	s_nop 1
	v_cndmask_b32_e64 v12, v8, v7, s[6:7]
	v_lshl_add_u64 v[6:7], v[4:5], 0, 2
	v_lshl_add_u64 v[8:9], v[4:5], 0, 1
	v_cmp_ne_u32_e64 s[6:7], 0, v12
	s_nop 1
	v_cndmask_b32_e64 v7, v9, v7, s[6:7]
	v_cndmask_b32_e64 v9, 0, -1, vcc
	v_cmp_le_u32_e32 vcc, s14, v11
	s_nop 1
	v_cndmask_b32_e64 v10, 0, -1, vcc
	v_cmp_eq_u32_e32 vcc, s15, v3
	s_nop 1
	v_cndmask_b32_e32 v3, v9, v10, vcc
	v_cmp_ne_u32_e32 vcc, 0, v3
	s_nop 1
	v_cndmask_b32_e32 v3, v5, v7, vcc
	v_cndmask_b32_e64 v5, v8, v6, s[6:7]
	v_cndmask_b32_e32 v4, v4, v5, vcc
	v_xor_b32_e32 v5, s12, v2
	v_xor_b32_e32 v4, v4, v5
	v_xor_b32_e32 v3, v3, v5
	v_sub_co_u32_e32 v6, vcc, v4, v5
	s_nop 1
	v_subb_co_u32_e32 v7, vcc, v3, v5, vcc
.LBB62_3:
	s_andn2_saveexec_b64 s[6:7], s[8:9]
	s_cbranch_execz .LBB62_5
; %bb.4:
	v_cvt_f32_u32_e32 v3, s34
	s_sub_i32 s8, 0, s34
	v_mov_b32_e32 v7, 0
	v_rcp_iflag_f32_e32 v3, v3
	s_nop 0
	v_mul_f32_e32 v3, 0x4f7ffffe, v3
	v_cvt_u32_f32_e32 v3, v3
	v_mul_lo_u32 v4, s8, v3
	v_mul_hi_u32 v4, v3, v4
	v_add_u32_e32 v3, v3, v4
	v_mul_hi_u32 v3, v0, v3
	v_mul_lo_u32 v4, v3, s34
	v_sub_u32_e32 v4, v0, v4
	v_add_u32_e32 v5, 1, v3
	v_subrev_u32_e32 v6, s34, v4
	v_cmp_le_u32_e32 vcc, s34, v4
	s_nop 1
	v_cndmask_b32_e32 v4, v4, v6, vcc
	v_cndmask_b32_e32 v3, v3, v5, vcc
	v_add_u32_e32 v5, 1, v3
	v_cmp_le_u32_e32 vcc, s34, v4
	s_nop 1
	v_cndmask_b32_e32 v6, v3, v5, vcc
.LBB62_5:
	s_or_b64 exec, exec, s[6:7]
	v_or_b32_e32 v9, s11, v7
	v_mov_b32_e32 v8, 0
	v_cmp_ne_u64_e32 vcc, 0, v[8:9]
                                        ; implicit-def: $vgpr4_vgpr5
	s_and_saveexec_b64 s[6:7], vcc
	s_xor_b64 s[12:13], exec, s[6:7]
	s_cbranch_execz .LBB62_7
; %bb.6:
	s_ashr_i32 s6, s11, 31
	s_add_u32 s8, s10, s6
	s_mov_b32 s7, s6
	s_addc_u32 s9, s11, s6
	s_xor_b64 s[14:15], s[8:9], s[6:7]
	v_cvt_f32_u32_e32 v3, s14
	v_cvt_f32_u32_e32 v4, s15
	s_sub_u32 s8, 0, s14
	s_subb_u32 s9, 0, s15
	v_ashrrev_i32_e32 v10, 31, v7
	v_fmamk_f32 v3, v4, 0x4f800000, v3
	v_rcp_f32_e32 v3, v3
	v_mov_b32_e32 v11, v10
	v_mov_b32_e32 v13, v8
	v_mul_f32_e32 v3, 0x5f7ffffc, v3
	v_mul_f32_e32 v4, 0x2f800000, v3
	v_trunc_f32_e32 v4, v4
	v_fmamk_f32 v3, v4, 0xcf800000, v3
	v_cvt_u32_f32_e32 v4, v4
	v_cvt_u32_f32_e32 v3, v3
	v_readfirstlane_b32 s11, v4
	v_readfirstlane_b32 s6, v3
	s_mul_i32 s7, s8, s11
	s_mul_hi_u32 s17, s8, s6
	s_mul_i32 s16, s9, s6
	s_add_i32 s7, s17, s7
	s_add_i32 s7, s7, s16
	s_mul_i32 s18, s8, s6
	s_mul_i32 s17, s6, s7
	s_mul_hi_u32 s19, s6, s18
	s_mul_hi_u32 s16, s6, s7
	s_add_u32 s17, s19, s17
	s_addc_u32 s16, 0, s16
	s_mul_hi_u32 s20, s11, s18
	s_mul_i32 s18, s11, s18
	s_add_u32 s17, s17, s18
	s_mul_hi_u32 s19, s11, s7
	s_addc_u32 s16, s16, s20
	s_addc_u32 s17, s19, 0
	s_mul_i32 s7, s11, s7
	s_add_u32 s7, s16, s7
	s_addc_u32 s16, 0, s17
	s_add_u32 s17, s6, s7
	s_cselect_b64 s[6:7], -1, 0
	s_cmp_lg_u64 s[6:7], 0
	s_addc_u32 s11, s11, s16
	s_mul_i32 s6, s8, s11
	s_mul_hi_u32 s7, s8, s17
	s_add_i32 s6, s7, s6
	s_mul_i32 s9, s9, s17
	s_add_i32 s6, s6, s9
	s_mul_i32 s8, s8, s17
	s_mul_hi_u32 s9, s11, s8
	s_mul_i32 s16, s11, s8
	s_mul_i32 s19, s17, s6
	s_mul_hi_u32 s8, s17, s8
	s_mul_hi_u32 s18, s17, s6
	s_add_u32 s8, s8, s19
	s_addc_u32 s18, 0, s18
	s_add_u32 s8, s8, s16
	s_mul_hi_u32 s7, s11, s6
	s_addc_u32 s8, s18, s9
	s_addc_u32 s7, s7, 0
	s_mul_i32 s6, s11, s6
	s_add_u32 s6, s8, s6
	s_addc_u32 s8, 0, s7
	s_add_u32 s9, s17, s6
	s_cselect_b64 s[6:7], -1, 0
	s_cmp_lg_u64 s[6:7], 0
	v_lshl_add_u64 v[4:5], v[6:7], 0, v[10:11]
	s_addc_u32 s8, s11, s8
	v_xor_b32_e32 v9, v4, v10
	v_xor_b32_e32 v3, v5, v10
	v_mad_u64_u32 v[4:5], s[6:7], v9, s8, 0
	v_mul_hi_u32 v12, v9, s9
	v_lshl_add_u64 v[4:5], v[12:13], 0, v[4:5]
	v_mad_u64_u32 v[14:15], s[6:7], v3, s9, 0
	v_add_co_u32_e32 v4, vcc, v4, v14
	v_mad_u64_u32 v[12:13], s[6:7], v3, s8, 0
	s_nop 0
	v_addc_co_u32_e32 v4, vcc, v5, v15, vcc
	v_mov_b32_e32 v5, v8
	s_nop 0
	v_addc_co_u32_e32 v13, vcc, 0, v13, vcc
	v_lshl_add_u64 v[4:5], v[4:5], 0, v[12:13]
	v_mul_lo_u32 v8, s15, v4
	v_mul_lo_u32 v11, s14, v5
	v_mad_u64_u32 v[4:5], s[6:7], s14, v4, 0
	v_add3_u32 v5, v5, v11, v8
	v_sub_u32_e32 v8, v3, v5
	v_mov_b32_e32 v11, s15
	v_sub_co_u32_e32 v4, vcc, v9, v4
	s_nop 1
	v_subb_co_u32_e64 v8, s[6:7], v8, v11, vcc
	v_subrev_co_u32_e64 v9, s[6:7], s14, v4
	v_subb_co_u32_e32 v3, vcc, v3, v5, vcc
	s_nop 0
	v_subbrev_co_u32_e64 v12, s[8:9], 0, v8, s[6:7]
	v_cmp_le_u32_e64 s[8:9], s15, v12
	v_subb_co_u32_e64 v8, s[6:7], v8, v11, s[6:7]
	s_nop 0
	v_cndmask_b32_e64 v13, 0, -1, s[8:9]
	v_cmp_le_u32_e64 s[8:9], s14, v9
	v_subrev_co_u32_e64 v11, s[6:7], s14, v9
	s_nop 0
	v_cndmask_b32_e64 v14, 0, -1, s[8:9]
	v_cmp_eq_u32_e64 s[8:9], s15, v12
	v_subbrev_co_u32_e64 v8, s[6:7], 0, v8, s[6:7]
	s_nop 0
	v_cndmask_b32_e64 v13, v13, v14, s[8:9]
	v_cmp_le_u32_e32 vcc, s15, v3
	v_cmp_ne_u32_e64 s[6:7], 0, v13
	s_nop 0
	v_cndmask_b32_e64 v5, 0, -1, vcc
	v_cmp_le_u32_e32 vcc, s14, v4
	v_cndmask_b32_e64 v8, v12, v8, s[6:7]
	s_nop 0
	v_cndmask_b32_e64 v12, 0, -1, vcc
	v_cmp_eq_u32_e32 vcc, s15, v3
	s_nop 1
	v_cndmask_b32_e32 v5, v5, v12, vcc
	v_cmp_ne_u32_e32 vcc, 0, v5
	v_cndmask_b32_e64 v5, v9, v11, s[6:7]
	s_nop 0
	v_cndmask_b32_e32 v4, v4, v5, vcc
	v_cndmask_b32_e32 v3, v3, v8, vcc
	v_xor_b32_e32 v4, v4, v10
	v_xor_b32_e32 v3, v3, v10
	v_sub_co_u32_e32 v4, vcc, v4, v10
	s_nop 1
	v_subb_co_u32_e32 v5, vcc, v3, v10, vcc
.LBB62_7:
	s_or_saveexec_b64 s[6:7], s[12:13]
	s_load_dwordx2 s[44:45], s[0:1], 0xa8
	s_load_dwordx8 s[24:31], s[0:1], 0x88
	s_xor_b64 exec, exec, s[6:7]
	s_cbranch_execz .LBB62_9
; %bb.8:
	v_cvt_f32_u32_e32 v3, s10
	s_sub_i32 s8, 0, s10
	v_mov_b32_e32 v5, 0
	v_rcp_iflag_f32_e32 v3, v3
	s_nop 0
	v_mul_f32_e32 v3, 0x4f7ffffe, v3
	v_cvt_u32_f32_e32 v3, v3
	v_mul_lo_u32 v4, s8, v3
	v_mul_hi_u32 v4, v3, v4
	v_add_u32_e32 v3, v3, v4
	v_mul_hi_u32 v3, v6, v3
	v_mul_lo_u32 v3, v3, s10
	v_sub_u32_e32 v3, v6, v3
	v_subrev_u32_e32 v4, s10, v3
	v_cmp_le_u32_e32 vcc, s10, v3
	s_nop 1
	v_cndmask_b32_e32 v3, v3, v4, vcc
	v_subrev_u32_e32 v4, s10, v3
	v_cmp_le_u32_e32 vcc, s10, v3
	s_nop 1
	v_cndmask_b32_e32 v4, v3, v4, vcc
.LBB62_9:
	s_or_b64 exec, exec, s[6:7]
	s_load_dwordx2 s[46:47], s[0:1], 0x58
	s_load_dwordx2 s[48:49], s[0:1], 0x0
	v_or_b32_e32 v11, s5, v1
	v_mov_b32_e32 v10, 0
	v_cmp_ne_u64_e32 vcc, 0, v[10:11]
                                        ; implicit-def: $vgpr8_vgpr9
	s_and_saveexec_b64 s[6:7], vcc
	s_xor_b64 s[8:9], exec, s[6:7]
	s_cbranch_execz .LBB62_11
; %bb.10:
	s_ashr_i32 s10, s5, 31
	s_add_u32 s6, s2, s10
	s_mov_b32 s11, s10
	s_addc_u32 s7, s5, s10
	s_xor_b64 s[12:13], s[6:7], s[10:11]
	v_cvt_f32_u32_e32 v3, s12
	v_cvt_f32_u32_e32 v8, s13
	s_sub_u32 s5, 0, s12
	s_subb_u32 s11, 0, s13
	v_mov_b32_e32 v13, v10
	v_fmamk_f32 v3, v8, 0x4f800000, v3
	v_rcp_f32_e32 v3, v3
	s_nop 0
	v_mul_f32_e32 v3, 0x5f7ffffc, v3
	v_mul_f32_e32 v8, 0x2f800000, v3
	v_trunc_f32_e32 v8, v8
	v_fmamk_f32 v3, v8, 0xcf800000, v3
	v_cvt_u32_f32_e32 v8, v8
	v_cvt_u32_f32_e32 v3, v3
	v_readfirstlane_b32 s14, v8
	v_readfirstlane_b32 s6, v3
	s_mul_i32 s7, s5, s14
	s_mul_hi_u32 s16, s5, s6
	s_mul_i32 s15, s11, s6
	s_add_i32 s7, s16, s7
	s_add_i32 s7, s7, s15
	s_mul_i32 s17, s5, s6
	s_mul_i32 s16, s6, s7
	s_mul_hi_u32 s18, s6, s17
	s_mul_hi_u32 s15, s6, s7
	s_add_u32 s16, s18, s16
	s_addc_u32 s15, 0, s15
	s_mul_hi_u32 s19, s14, s17
	s_mul_i32 s17, s14, s17
	s_add_u32 s16, s16, s17
	s_mul_hi_u32 s18, s14, s7
	s_addc_u32 s15, s15, s19
	s_addc_u32 s16, s18, 0
	s_mul_i32 s7, s14, s7
	s_add_u32 s7, s15, s7
	s_addc_u32 s15, 0, s16
	s_add_u32 s16, s6, s7
	s_cselect_b64 s[6:7], -1, 0
	s_cmp_lg_u64 s[6:7], 0
	s_addc_u32 s14, s14, s15
	s_mul_i32 s6, s5, s14
	s_mul_hi_u32 s7, s5, s16
	s_add_i32 s6, s7, s6
	s_mul_i32 s11, s11, s16
	s_add_i32 s6, s6, s11
	s_mul_i32 s5, s5, s16
	s_mul_hi_u32 s11, s14, s5
	s_mul_i32 s15, s14, s5
	s_mul_i32 s18, s16, s6
	s_mul_hi_u32 s5, s16, s5
	s_mul_hi_u32 s17, s16, s6
	s_add_u32 s5, s5, s18
	s_addc_u32 s17, 0, s17
	s_add_u32 s5, s5, s15
	s_mul_hi_u32 s7, s14, s6
	s_addc_u32 s5, s17, s11
	s_addc_u32 s7, s7, 0
	s_mul_i32 s6, s14, s6
	s_add_u32 s5, s5, s6
	s_addc_u32 s11, 0, s7
	s_add_u32 s5, s16, s5
	s_cselect_b64 s[6:7], -1, 0
	v_mov_b32_e32 v3, v2
	s_cmp_lg_u64 s[6:7], 0
	v_lshl_add_u64 v[8:9], v[0:1], 0, v[2:3]
	s_addc_u32 s11, s14, s11
	v_xor_b32_e32 v16, v8, v2
	v_xor_b32_e32 v3, v9, v2
	v_mad_u64_u32 v[8:9], s[6:7], v16, s11, 0
	v_mul_hi_u32 v12, v16, s5
	v_lshl_add_u64 v[8:9], v[12:13], 0, v[8:9]
	v_mad_u64_u32 v[14:15], s[6:7], v3, s5, 0
	v_add_co_u32_e32 v8, vcc, v8, v14
	v_mad_u64_u32 v[12:13], s[6:7], v3, s11, 0
	s_nop 0
	v_addc_co_u32_e32 v8, vcc, v9, v15, vcc
	v_mov_b32_e32 v9, v10
	s_nop 0
	v_addc_co_u32_e32 v13, vcc, 0, v13, vcc
	v_lshl_add_u64 v[8:9], v[8:9], 0, v[12:13]
	v_mul_lo_u32 v12, s13, v8
	v_mul_lo_u32 v13, s12, v9
	v_mad_u64_u32 v[10:11], s[6:7], s12, v8, 0
	v_add3_u32 v14, v11, v13, v12
	v_sub_u32_e32 v11, v3, v14
	v_mov_b32_e32 v12, s13
	v_sub_co_u32_e32 v15, vcc, v16, v10
	v_xor_b32_e32 v2, s10, v2
	s_nop 0
	v_subb_co_u32_e64 v10, s[6:7], v11, v12, vcc
	v_subrev_co_u32_e64 v11, s[6:7], s12, v15
	v_subb_co_u32_e32 v3, vcc, v3, v14, vcc
	s_nop 0
	v_subbrev_co_u32_e64 v10, s[6:7], 0, v10, s[6:7]
	v_cmp_le_u32_e64 s[6:7], s13, v10
	v_cmp_le_u32_e32 vcc, s13, v3
	s_nop 0
	v_cndmask_b32_e64 v12, 0, -1, s[6:7]
	v_cmp_le_u32_e64 s[6:7], s12, v11
	s_nop 1
	v_cndmask_b32_e64 v11, 0, -1, s[6:7]
	v_cmp_eq_u32_e64 s[6:7], s13, v10
	s_nop 1
	v_cndmask_b32_e64 v16, v12, v11, s[6:7]
	v_lshl_add_u64 v[10:11], v[8:9], 0, 2
	v_lshl_add_u64 v[12:13], v[8:9], 0, 1
	v_cmp_ne_u32_e64 s[6:7], 0, v16
	s_nop 1
	v_cndmask_b32_e64 v11, v13, v11, s[6:7]
	v_cndmask_b32_e64 v13, 0, -1, vcc
	v_cmp_le_u32_e32 vcc, s12, v15
	s_nop 1
	v_cndmask_b32_e64 v14, 0, -1, vcc
	v_cmp_eq_u32_e32 vcc, s13, v3
	s_nop 1
	v_cndmask_b32_e32 v3, v13, v14, vcc
	v_cmp_ne_u32_e32 vcc, 0, v3
	s_nop 1
	v_cndmask_b32_e32 v3, v9, v11, vcc
	v_cndmask_b32_e64 v9, v12, v10, s[6:7]
	v_cndmask_b32_e32 v8, v8, v9, vcc
	v_xor_b32_e32 v8, v8, v2
	v_xor_b32_e32 v3, v3, v2
	v_sub_co_u32_e32 v8, vcc, v8, v2
	s_nop 1
	v_subb_co_u32_e32 v9, vcc, v3, v2, vcc
.LBB62_11:
	s_or_saveexec_b64 s[6:7], s[8:9]
	s_load_dwordx16 s[8:23], s[0:1], 0x18
	s_xor_b64 exec, exec, s[6:7]
	s_cbranch_execz .LBB62_13
; %bb.12:
	v_cvt_f32_u32_e32 v2, s2
	s_sub_i32 s5, 0, s2
	v_rcp_iflag_f32_e32 v2, v2
	s_nop 0
	v_mul_f32_e32 v2, 0x4f7ffffe, v2
	v_cvt_u32_f32_e32 v2, v2
	v_mul_lo_u32 v3, s5, v2
	v_mul_hi_u32 v3, v2, v3
	v_add_u32_e32 v2, v2, v3
	v_mul_hi_u32 v2, v0, v2
	v_mul_lo_u32 v3, v2, s2
	v_sub_u32_e32 v3, v0, v3
	v_add_u32_e32 v8, 1, v2
	v_subrev_u32_e32 v9, s2, v3
	v_cmp_le_u32_e32 vcc, s2, v3
	s_nop 1
	v_cndmask_b32_e32 v3, v3, v9, vcc
	v_cndmask_b32_e32 v2, v2, v8, vcc
	v_add_u32_e32 v8, 1, v2
	v_cmp_le_u32_e32 vcc, s2, v3
	v_mov_b32_e32 v9, 0
	s_nop 0
	v_cndmask_b32_e32 v8, v2, v8, vcc
.LBB62_13:
	s_or_b64 exec, exec, s[6:7]
	s_load_dwordx8 s[36:43], s[0:1], 0xb0
	v_mad_u64_u32 v[2:3], s[6:7], v6, s34, 0
	v_mul_lo_u32 v7, v7, s34
	v_mul_lo_u32 v10, v6, s35
	s_waitcnt lgkmcnt(0)
	s_sub_u32 s6, 0, s36
	s_subb_u32 s7, 0, s37
	s_sub_u32 s34, 0, s38
	s_subb_u32 s35, 0, s39
	;; [unrolled: 2-line block ×3, first 2 shown]
	v_cmp_gt_i64_e64 s[52:53], s[6:7], 0
	s_and_b64 s[52:53], s[52:53], exec
	s_cselect_b32 s2, s7, 0
	s_cselect_b32 s5, s6, 0
	v_cmp_gt_i64_e64 s[6:7], s[36:37], 0
	s_and_b64 s[6:7], s[6:7], exec
	v_cmp_gt_i64_e64 s[6:7], s[34:35], 0
	s_cselect_b32 s53, s37, 0
	s_cselect_b32 s52, s36, 0
	s_and_b64 s[6:7], s[6:7], exec
	v_add3_u32 v3, v3, v10, v7
	v_sub_co_u32_e32 v0, vcc, v0, v2
	v_cmp_gt_i64_e64 s[6:7], s[38:39], 0
	s_nop 0
	v_subb_co_u32_e32 v1, vcc, v1, v3, vcc
	s_cselect_b32 s33, s35, 0
	s_cselect_b32 s54, s34, 0
	s_and_b64 s[6:7], s[6:7], exec
	v_cmp_gt_i64_e64 s[6:7], s[50:51], 0
	v_mov_b32_e32 v2, s37
	v_subrev_co_u32_e32 v3, vcc, s36, v0
	s_cselect_b32 s35, s39, 0
	s_cselect_b32 s34, s38, 0
	s_and_b64 s[6:7], s[6:7], exec
	v_subb_co_u32_e32 v2, vcc, v1, v2, vcc
	v_cmp_gt_i64_e64 s[6:7], s[40:41], 0
	v_ashrrev_i32_e32 v6, 31, v2
	s_cselect_b32 s55, s51, 0
	s_cselect_b32 s56, s50, 0
	s_and_b64 s[6:7], s[6:7], exec
	v_xor_b32_e32 v7, v2, v6
	v_xor_b32_e32 v2, v3, v6
	s_cselect_b32 s7, s41, 0
	s_cselect_b32 s6, s40, 0
	v_sub_co_u32_e32 v2, vcc, v2, v6
	s_add_u32 s50, s36, s12
	s_nop 0
	v_subb_co_u32_e32 v3, vcc, v7, v6, vcc
	s_addc_u32 s51, s37, s13
	v_mov_b32_e32 v7, s51
	v_subrev_co_u32_e32 v6, vcc, s50, v0
	s_lshl_b64 s[36:37], s[36:37], 1
	s_nop 0
	v_subb_co_u32_e32 v7, vcc, v1, v7, vcc
	s_not_b64 s[50:51], s[52:53]
	v_lshl_add_u64 v[6:7], v[6:7], 0, 1
	s_add_u32 s36, s36, s50
	v_ashrrev_i32_e32 v10, 31, v7
	s_addc_u32 s37, s37, s51
	v_xor_b32_e32 v6, v6, v10
	s_add_u32 s5, s36, s5
	v_xor_b32_e32 v7, v7, v10
	v_sub_co_u32_e32 v6, vcc, v6, v10
	s_addc_u32 s2, s37, s2
	s_nop 0
	v_subb_co_u32_e32 v7, vcc, v7, v10, vcc
	s_add_u32 s5, s5, s12
	s_addc_u32 s2, s2, s13
	v_lshl_add_u64 v[6:7], v[0:1], 0, v[6:7]
	v_mov_b32_e32 v10, s2
	v_sub_co_u32_e32 v6, vcc, s5, v6
	s_add_u32 s2, s38, s10
	s_nop 0
	v_subb_co_u32_e32 v7, vcc, v10, v7, vcc
	v_lshl_add_u64 v[2:3], v[6:7], 0, v[2:3]
	v_mov_b32_e32 v6, s39
	v_subrev_co_u32_e32 v7, vcc, s38, v4
	s_addc_u32 s5, s39, s11
	s_nop 0
	v_subb_co_u32_e32 v6, vcc, v5, v6, vcc
	v_ashrrev_i32_e32 v10, 31, v6
	v_xor_b32_e32 v11, v6, v10
	v_xor_b32_e32 v6, v7, v10
	v_sub_co_u32_e32 v6, vcc, v6, v10
	s_lshl_b64 s[12:13], s[38:39], 1
	s_nop 0
	v_subb_co_u32_e32 v7, vcc, v11, v10, vcc
	v_mov_b32_e32 v11, s5
	v_subrev_co_u32_e32 v10, vcc, s2, v4
	s_not_b64 s[34:35], s[34:35]
	s_nop 0
	v_subb_co_u32_e32 v11, vcc, v5, v11, vcc
	v_lshl_add_u64 v[10:11], v[10:11], 0, 1
	s_add_u32 s2, s12, s34
	v_ashrrev_i32_e32 v12, 31, v11
	s_addc_u32 s5, s13, s35
	v_xor_b32_e32 v10, v10, v12
	s_add_u32 s2, s2, s54
	v_xor_b32_e32 v11, v11, v12
	v_sub_co_u32_e32 v10, vcc, v10, v12
	s_addc_u32 s5, s5, s33
	s_nop 0
	v_subb_co_u32_e32 v11, vcc, v11, v12, vcc
	s_add_u32 s2, s2, s10
	s_addc_u32 s5, s5, s11
	v_lshl_add_u64 v[10:11], v[4:5], 0, v[10:11]
	v_mov_b32_e32 v12, s5
	v_sub_co_u32_e32 v10, vcc, s2, v10
	s_add_u32 s2, s40, s8
	s_nop 0
	v_subb_co_u32_e32 v11, vcc, v12, v11, vcc
	v_lshl_add_u64 v[6:7], v[10:11], 0, v[6:7]
	v_mov_b32_e32 v10, s41
	v_subrev_co_u32_e32 v11, vcc, s40, v8
	s_addc_u32 s5, s41, s9
	s_nop 0
	v_subb_co_u32_e32 v10, vcc, v9, v10, vcc
	v_ashrrev_i32_e32 v12, 31, v10
	v_xor_b32_e32 v13, v10, v12
	v_xor_b32_e32 v10, v11, v12
	v_sub_co_u32_e32 v10, vcc, v10, v12
	s_lshl_b64 s[10:11], s[40:41], 1
	s_nop 0
	v_subb_co_u32_e32 v11, vcc, v13, v12, vcc
	s_not_b64 s[6:7], s[6:7]
	v_mov_b32_e32 v13, s5
	v_subrev_co_u32_e32 v12, vcc, s2, v8
	s_add_u32 s2, s10, s6
	s_nop 0
	v_subb_co_u32_e32 v13, vcc, v9, v13, vcc
	s_addc_u32 s5, s11, s7
	v_lshl_add_u64 v[12:13], v[12:13], 0, 1
	s_add_u32 s2, s2, s56
	s_load_dwordx2 s[0:1], s[0:1], 0xd0
	v_ashrrev_i32_e32 v14, 31, v13
	s_addc_u32 s5, s5, s55
	v_xor_b32_e32 v12, v12, v14
	s_add_u32 s2, s2, s8
	v_xor_b32_e32 v13, v13, v14
	v_sub_co_u32_e32 v12, vcc, v12, v14
	s_addc_u32 s5, s5, s9
	s_nop 0
	v_subb_co_u32_e32 v13, vcc, v13, v14, vcc
	v_mov_b32_e32 v14, s5
	s_add_u32 s5, s42, s3
	s_addc_u32 s6, s43, 0
	s_waitcnt lgkmcnt(0)
	s_add_u32 s4, s0, s4
	s_addc_u32 s7, s1, 0
	s_mul_i32 s0, s14, s7
	s_mul_hi_u32 s1, s14, s4
	s_add_i32 s0, s1, s0
	s_mul_i32 s1, s15, s4
	s_add_i32 s1, s0, s1
	s_mul_i32 s0, s14, s4
	v_lshl_add_u64 v[12:13], v[8:9], 0, v[12:13]
	s_lshl_b64 s[0:1], s[0:1], 3
	v_sub_co_u32_e32 v12, vcc, s2, v12
	s_add_u32 s2, s48, s0
	s_addc_u32 s3, s49, s1
	s_mul_i32 s0, s16, s6
	s_mul_hi_u32 s1, s16, s5
	s_add_i32 s0, s1, s0
	s_mul_i32 s1, s17, s5
	s_add_i32 s1, s0, s1
	s_mul_i32 s0, s16, s5
	v_subb_co_u32_e32 v13, vcc, v14, v13, vcc
	s_lshl_b64 s[0:1], s[0:1], 3
	v_lshl_add_u64 v[10:11], v[12:13], 0, v[10:11]
	s_add_u32 s0, s2, s0
	s_addc_u32 s1, s3, s1
	v_mul_lo_u32 v12, v11, s18
	v_mul_lo_u32 v13, v10, s19
	v_mad_u64_u32 v[10:11], s[2:3], v10, s18, 0
	v_add3_u32 v11, v11, v13, v12
	v_lshl_add_u64 v[10:11], v[10:11], 3, s[0:1]
	v_mul_lo_u32 v12, v7, s20
	v_mul_lo_u32 v13, v6, s21
	v_mad_u64_u32 v[6:7], s[0:1], v6, s20, 0
	v_add3_u32 v7, v7, v13, v12
	v_lshl_add_u64 v[6:7], v[6:7], 3, v[10:11]
	v_mul_lo_u32 v10, v3, s22
	v_mul_lo_u32 v11, v2, s23
	v_mad_u64_u32 v[2:3], s[0:1], v2, s22, 0
	v_add3_u32 v3, v3, v11, v10
	v_lshl_add_u64 v[2:3], v[2:3], 3, v[6:7]
	global_load_dwordx2 v[2:3], v[2:3], off
	s_mul_i32 s0, s24, s7
	s_mul_hi_u32 s1, s24, s4
	s_add_i32 s0, s1, s0
	s_mul_i32 s1, s25, s4
	s_add_i32 s1, s0, s1
	s_mul_i32 s0, s24, s4
	s_lshl_b64 s[0:1], s[0:1], 3
	s_add_u32 s2, s46, s0
	s_addc_u32 s3, s47, s1
	s_mul_i32 s0, s26, s6
	s_mul_hi_u32 s1, s26, s5
	s_add_i32 s0, s1, s0
	s_mul_i32 s1, s27, s5
	s_add_i32 s1, s0, s1
	s_mul_i32 s0, s26, s5
	s_lshl_b64 s[0:1], s[0:1], 3
	s_add_u32 s0, s2, s0
	s_addc_u32 s1, s3, s1
	v_mul_lo_u32 v9, v9, s28
	v_mul_lo_u32 v10, v8, s29
	v_mad_u64_u32 v[6:7], s[2:3], v8, s28, 0
	v_add3_u32 v7, v7, v10, v9
	v_lshl_add_u64 v[6:7], v[6:7], 3, s[0:1]
	v_mul_lo_u32 v8, v5, s30
	v_mul_lo_u32 v9, v4, s31
	v_mad_u64_u32 v[4:5], s[0:1], v4, s30, 0
	v_add3_u32 v5, v5, v9, v8
	v_lshl_add_u64 v[4:5], v[4:5], 3, v[6:7]
	;; [unrolled: 5-line block ×3, first 2 shown]
	s_waitcnt vmcnt(0)
	global_store_dwordx2 v[0:1], v[2:3], off
.LBB62_14:
	s_endpgm
	.section	.rodata,"a",@progbits
	.p2align	6, 0x0
	.amdhsa_kernel _ZN2at6native12_GLOBAL__N_127reflection_pad3d_out_kernelIdEEvN5torch10headeronly6detail27GenericPackedTensorAccessorINS5_14TensorAccessorIN3c108ArrayRefIlEEKT_Lm4ENS4_16DefaultPtrTraitsElEENS_6detail16IndexBoundsCheckILm5ElEESC_Lm5ESD_lEENS6_INS7_ISA_SB_Lm4ESD_lEESH_SB_Lm5ESD_lEElllll
		.amdhsa_group_segment_fixed_size 0
		.amdhsa_private_segment_fixed_size 0
		.amdhsa_kernarg_size 472
		.amdhsa_user_sgpr_count 2
		.amdhsa_user_sgpr_dispatch_ptr 0
		.amdhsa_user_sgpr_queue_ptr 0
		.amdhsa_user_sgpr_kernarg_segment_ptr 1
		.amdhsa_user_sgpr_dispatch_id 0
		.amdhsa_user_sgpr_kernarg_preload_length 0
		.amdhsa_user_sgpr_kernarg_preload_offset 0
		.amdhsa_user_sgpr_private_segment_size 0
		.amdhsa_uses_dynamic_stack 0
		.amdhsa_enable_private_segment 0
		.amdhsa_system_sgpr_workgroup_id_x 1
		.amdhsa_system_sgpr_workgroup_id_y 1
		.amdhsa_system_sgpr_workgroup_id_z 1
		.amdhsa_system_sgpr_workgroup_info 0
		.amdhsa_system_vgpr_workitem_id 0
		.amdhsa_next_free_vgpr 17
		.amdhsa_next_free_sgpr 57
		.amdhsa_accum_offset 20
		.amdhsa_reserve_vcc 1
		.amdhsa_float_round_mode_32 0
		.amdhsa_float_round_mode_16_64 0
		.amdhsa_float_denorm_mode_32 3
		.amdhsa_float_denorm_mode_16_64 3
		.amdhsa_dx10_clamp 1
		.amdhsa_ieee_mode 1
		.amdhsa_fp16_overflow 0
		.amdhsa_tg_split 0
		.amdhsa_exception_fp_ieee_invalid_op 0
		.amdhsa_exception_fp_denorm_src 0
		.amdhsa_exception_fp_ieee_div_zero 0
		.amdhsa_exception_fp_ieee_overflow 0
		.amdhsa_exception_fp_ieee_underflow 0
		.amdhsa_exception_fp_ieee_inexact 0
		.amdhsa_exception_int_div_zero 0
	.end_amdhsa_kernel
	.section	.text._ZN2at6native12_GLOBAL__N_127reflection_pad3d_out_kernelIdEEvN5torch10headeronly6detail27GenericPackedTensorAccessorINS5_14TensorAccessorIN3c108ArrayRefIlEEKT_Lm4ENS4_16DefaultPtrTraitsElEENS_6detail16IndexBoundsCheckILm5ElEESC_Lm5ESD_lEENS6_INS7_ISA_SB_Lm4ESD_lEESH_SB_Lm5ESD_lEElllll,"axG",@progbits,_ZN2at6native12_GLOBAL__N_127reflection_pad3d_out_kernelIdEEvN5torch10headeronly6detail27GenericPackedTensorAccessorINS5_14TensorAccessorIN3c108ArrayRefIlEEKT_Lm4ENS4_16DefaultPtrTraitsElEENS_6detail16IndexBoundsCheckILm5ElEESC_Lm5ESD_lEENS6_INS7_ISA_SB_Lm4ESD_lEESH_SB_Lm5ESD_lEElllll,comdat
.Lfunc_end62:
	.size	_ZN2at6native12_GLOBAL__N_127reflection_pad3d_out_kernelIdEEvN5torch10headeronly6detail27GenericPackedTensorAccessorINS5_14TensorAccessorIN3c108ArrayRefIlEEKT_Lm4ENS4_16DefaultPtrTraitsElEENS_6detail16IndexBoundsCheckILm5ElEESC_Lm5ESD_lEENS6_INS7_ISA_SB_Lm4ESD_lEESH_SB_Lm5ESD_lEElllll, .Lfunc_end62-_ZN2at6native12_GLOBAL__N_127reflection_pad3d_out_kernelIdEEvN5torch10headeronly6detail27GenericPackedTensorAccessorINS5_14TensorAccessorIN3c108ArrayRefIlEEKT_Lm4ENS4_16DefaultPtrTraitsElEENS_6detail16IndexBoundsCheckILm5ElEESC_Lm5ESD_lEENS6_INS7_ISA_SB_Lm4ESD_lEESH_SB_Lm5ESD_lEElllll
                                        ; -- End function
	.set _ZN2at6native12_GLOBAL__N_127reflection_pad3d_out_kernelIdEEvN5torch10headeronly6detail27GenericPackedTensorAccessorINS5_14TensorAccessorIN3c108ArrayRefIlEEKT_Lm4ENS4_16DefaultPtrTraitsElEENS_6detail16IndexBoundsCheckILm5ElEESC_Lm5ESD_lEENS6_INS7_ISA_SB_Lm4ESD_lEESH_SB_Lm5ESD_lEElllll.num_vgpr, 17
	.set _ZN2at6native12_GLOBAL__N_127reflection_pad3d_out_kernelIdEEvN5torch10headeronly6detail27GenericPackedTensorAccessorINS5_14TensorAccessorIN3c108ArrayRefIlEEKT_Lm4ENS4_16DefaultPtrTraitsElEENS_6detail16IndexBoundsCheckILm5ElEESC_Lm5ESD_lEENS6_INS7_ISA_SB_Lm4ESD_lEESH_SB_Lm5ESD_lEElllll.num_agpr, 0
	.set _ZN2at6native12_GLOBAL__N_127reflection_pad3d_out_kernelIdEEvN5torch10headeronly6detail27GenericPackedTensorAccessorINS5_14TensorAccessorIN3c108ArrayRefIlEEKT_Lm4ENS4_16DefaultPtrTraitsElEENS_6detail16IndexBoundsCheckILm5ElEESC_Lm5ESD_lEENS6_INS7_ISA_SB_Lm4ESD_lEESH_SB_Lm5ESD_lEElllll.numbered_sgpr, 57
	.set _ZN2at6native12_GLOBAL__N_127reflection_pad3d_out_kernelIdEEvN5torch10headeronly6detail27GenericPackedTensorAccessorINS5_14TensorAccessorIN3c108ArrayRefIlEEKT_Lm4ENS4_16DefaultPtrTraitsElEENS_6detail16IndexBoundsCheckILm5ElEESC_Lm5ESD_lEENS6_INS7_ISA_SB_Lm4ESD_lEESH_SB_Lm5ESD_lEElllll.num_named_barrier, 0
	.set _ZN2at6native12_GLOBAL__N_127reflection_pad3d_out_kernelIdEEvN5torch10headeronly6detail27GenericPackedTensorAccessorINS5_14TensorAccessorIN3c108ArrayRefIlEEKT_Lm4ENS4_16DefaultPtrTraitsElEENS_6detail16IndexBoundsCheckILm5ElEESC_Lm5ESD_lEENS6_INS7_ISA_SB_Lm4ESD_lEESH_SB_Lm5ESD_lEElllll.private_seg_size, 0
	.set _ZN2at6native12_GLOBAL__N_127reflection_pad3d_out_kernelIdEEvN5torch10headeronly6detail27GenericPackedTensorAccessorINS5_14TensorAccessorIN3c108ArrayRefIlEEKT_Lm4ENS4_16DefaultPtrTraitsElEENS_6detail16IndexBoundsCheckILm5ElEESC_Lm5ESD_lEENS6_INS7_ISA_SB_Lm4ESD_lEESH_SB_Lm5ESD_lEElllll.uses_vcc, 1
	.set _ZN2at6native12_GLOBAL__N_127reflection_pad3d_out_kernelIdEEvN5torch10headeronly6detail27GenericPackedTensorAccessorINS5_14TensorAccessorIN3c108ArrayRefIlEEKT_Lm4ENS4_16DefaultPtrTraitsElEENS_6detail16IndexBoundsCheckILm5ElEESC_Lm5ESD_lEENS6_INS7_ISA_SB_Lm4ESD_lEESH_SB_Lm5ESD_lEElllll.uses_flat_scratch, 0
	.set _ZN2at6native12_GLOBAL__N_127reflection_pad3d_out_kernelIdEEvN5torch10headeronly6detail27GenericPackedTensorAccessorINS5_14TensorAccessorIN3c108ArrayRefIlEEKT_Lm4ENS4_16DefaultPtrTraitsElEENS_6detail16IndexBoundsCheckILm5ElEESC_Lm5ESD_lEENS6_INS7_ISA_SB_Lm4ESD_lEESH_SB_Lm5ESD_lEElllll.has_dyn_sized_stack, 0
	.set _ZN2at6native12_GLOBAL__N_127reflection_pad3d_out_kernelIdEEvN5torch10headeronly6detail27GenericPackedTensorAccessorINS5_14TensorAccessorIN3c108ArrayRefIlEEKT_Lm4ENS4_16DefaultPtrTraitsElEENS_6detail16IndexBoundsCheckILm5ElEESC_Lm5ESD_lEENS6_INS7_ISA_SB_Lm4ESD_lEESH_SB_Lm5ESD_lEElllll.has_recursion, 0
	.set _ZN2at6native12_GLOBAL__N_127reflection_pad3d_out_kernelIdEEvN5torch10headeronly6detail27GenericPackedTensorAccessorINS5_14TensorAccessorIN3c108ArrayRefIlEEKT_Lm4ENS4_16DefaultPtrTraitsElEENS_6detail16IndexBoundsCheckILm5ElEESC_Lm5ESD_lEENS6_INS7_ISA_SB_Lm4ESD_lEESH_SB_Lm5ESD_lEElllll.has_indirect_call, 0
	.section	.AMDGPU.csdata,"",@progbits
; Kernel info:
; codeLenInByte = 3652
; TotalNumSgprs: 63
; NumVgprs: 17
; NumAgprs: 0
; TotalNumVgprs: 17
; ScratchSize: 0
; MemoryBound: 0
; FloatMode: 240
; IeeeMode: 1
; LDSByteSize: 0 bytes/workgroup (compile time only)
; SGPRBlocks: 7
; VGPRBlocks: 2
; NumSGPRsForWavesPerEU: 63
; NumVGPRsForWavesPerEU: 17
; AccumOffset: 20
; Occupancy: 8
; WaveLimiterHint : 0
; COMPUTE_PGM_RSRC2:SCRATCH_EN: 0
; COMPUTE_PGM_RSRC2:USER_SGPR: 2
; COMPUTE_PGM_RSRC2:TRAP_HANDLER: 0
; COMPUTE_PGM_RSRC2:TGID_X_EN: 1
; COMPUTE_PGM_RSRC2:TGID_Y_EN: 1
; COMPUTE_PGM_RSRC2:TGID_Z_EN: 1
; COMPUTE_PGM_RSRC2:TIDIG_COMP_CNT: 0
; COMPUTE_PGM_RSRC3_GFX90A:ACCUM_OFFSET: 4
; COMPUTE_PGM_RSRC3_GFX90A:TG_SPLIT: 0
	.section	.text._ZN2at6native12_GLOBAL__N_127reflection_pad3d_out_kernelIfEEvN5torch10headeronly6detail27GenericPackedTensorAccessorINS5_14TensorAccessorIN3c108ArrayRefIlEEKT_Lm4ENS4_16DefaultPtrTraitsElEENS_6detail16IndexBoundsCheckILm5ElEESC_Lm5ESD_lEENS6_INS7_ISA_SB_Lm4ESD_lEESH_SB_Lm5ESD_lEElllll,"axG",@progbits,_ZN2at6native12_GLOBAL__N_127reflection_pad3d_out_kernelIfEEvN5torch10headeronly6detail27GenericPackedTensorAccessorINS5_14TensorAccessorIN3c108ArrayRefIlEEKT_Lm4ENS4_16DefaultPtrTraitsElEENS_6detail16IndexBoundsCheckILm5ElEESC_Lm5ESD_lEENS6_INS7_ISA_SB_Lm4ESD_lEESH_SB_Lm5ESD_lEElllll,comdat
	.globl	_ZN2at6native12_GLOBAL__N_127reflection_pad3d_out_kernelIfEEvN5torch10headeronly6detail27GenericPackedTensorAccessorINS5_14TensorAccessorIN3c108ArrayRefIlEEKT_Lm4ENS4_16DefaultPtrTraitsElEENS_6detail16IndexBoundsCheckILm5ElEESC_Lm5ESD_lEENS6_INS7_ISA_SB_Lm4ESD_lEESH_SB_Lm5ESD_lEElllll ; -- Begin function _ZN2at6native12_GLOBAL__N_127reflection_pad3d_out_kernelIfEEvN5torch10headeronly6detail27GenericPackedTensorAccessorINS5_14TensorAccessorIN3c108ArrayRefIlEEKT_Lm4ENS4_16DefaultPtrTraitsElEENS_6detail16IndexBoundsCheckILm5ElEESC_Lm5ESD_lEENS6_INS7_ISA_SB_Lm4ESD_lEESH_SB_Lm5ESD_lEElllll
	.p2align	8
	.type	_ZN2at6native12_GLOBAL__N_127reflection_pad3d_out_kernelIfEEvN5torch10headeronly6detail27GenericPackedTensorAccessorINS5_14TensorAccessorIN3c108ArrayRefIlEEKT_Lm4ENS4_16DefaultPtrTraitsElEENS_6detail16IndexBoundsCheckILm5ElEESC_Lm5ESD_lEENS6_INS7_ISA_SB_Lm4ESD_lEESH_SB_Lm5ESD_lEElllll,@function
_ZN2at6native12_GLOBAL__N_127reflection_pad3d_out_kernelIfEEvN5torch10headeronly6detail27GenericPackedTensorAccessorINS5_14TensorAccessorIN3c108ArrayRefIlEEKT_Lm4ENS4_16DefaultPtrTraitsElEENS_6detail16IndexBoundsCheckILm5ElEESC_Lm5ESD_lEENS6_INS7_ISA_SB_Lm4ESD_lEESH_SB_Lm5ESD_lEElllll: ; @_ZN2at6native12_GLOBAL__N_127reflection_pad3d_out_kernelIfEEvN5torch10headeronly6detail27GenericPackedTensorAccessorINS5_14TensorAccessorIN3c108ArrayRefIlEEKT_Lm4ENS4_16DefaultPtrTraitsElEENS_6detail16IndexBoundsCheckILm5ElEESC_Lm5ESD_lEENS6_INS7_ISA_SB_Lm4ESD_lEESH_SB_Lm5ESD_lEElllll
; %bb.0:
	s_load_dword s5, s[0:1], 0xe4
	s_load_dwordx4 s[8:11], s[0:1], 0x70
	s_load_dwordx2 s[34:35], s[0:1], 0x80
	v_mov_b32_e32 v2, 0
	v_mov_b32_e32 v1, v2
	s_waitcnt lgkmcnt(0)
	s_and_b32 s5, s5, 0xffff
	v_mov_b32_e32 v3, s2
	v_mad_u64_u32 v[0:1], s[6:7], s5, v3, v[0:1]
	s_mul_i32 s2, s34, s11
	s_mul_hi_u32 s5, s34, s10
	s_add_i32 s5, s5, s2
	s_mul_i32 s2, s35, s10
	s_add_i32 s5, s5, s2
	s_mul_i32 s2, s34, s10
	s_mul_i32 s6, s2, s9
	s_mul_hi_u32 s7, s2, s8
	s_add_i32 s6, s7, s6
	s_mul_i32 s7, s5, s8
	s_add_i32 s7, s6, s7
	s_mul_i32 s6, s2, s8
	v_cmp_gt_i64_e32 vcc, s[6:7], v[0:1]
	s_and_saveexec_b64 s[6:7], vcc
	s_cbranch_execz .LBB63_14
; %bb.1:
	v_or_b32_e32 v3, s35, v1
	v_cmp_ne_u64_e32 vcc, 0, v[2:3]
	v_ashrrev_i32_e32 v2, 31, v1
                                        ; implicit-def: $vgpr6_vgpr7
	s_and_saveexec_b64 s[6:7], vcc
	s_xor_b64 s[8:9], exec, s[6:7]
	s_cbranch_execz .LBB63_3
; %bb.2:
	s_ashr_i32 s12, s35, 31
	s_add_u32 s6, s34, s12
	s_mov_b32 s13, s12
	s_addc_u32 s7, s35, s12
	s_xor_b64 s[14:15], s[6:7], s[12:13]
	v_cvt_f32_u32_e32 v3, s14
	v_cvt_f32_u32_e32 v4, s15
	s_sub_u32 s13, 0, s14
	s_subb_u32 s16, 0, s15
	v_mov_b32_e32 v7, 0
	v_fmamk_f32 v3, v4, 0x4f800000, v3
	v_rcp_f32_e32 v3, v3
	s_nop 0
	v_mul_f32_e32 v3, 0x5f7ffffc, v3
	v_mul_f32_e32 v4, 0x2f800000, v3
	v_trunc_f32_e32 v4, v4
	v_fmamk_f32 v3, v4, 0xcf800000, v3
	v_cvt_u32_f32_e32 v4, v4
	v_cvt_u32_f32_e32 v3, v3
	v_readfirstlane_b32 s17, v4
	v_readfirstlane_b32 s6, v3
	s_mul_i32 s7, s13, s17
	s_mul_hi_u32 s19, s13, s6
	s_mul_i32 s18, s16, s6
	s_add_i32 s7, s19, s7
	s_add_i32 s7, s7, s18
	s_mul_i32 s20, s13, s6
	s_mul_i32 s19, s6, s7
	s_mul_hi_u32 s21, s6, s20
	s_mul_hi_u32 s18, s6, s7
	s_add_u32 s19, s21, s19
	s_addc_u32 s18, 0, s18
	s_mul_hi_u32 s22, s17, s20
	s_mul_i32 s20, s17, s20
	s_add_u32 s19, s19, s20
	s_mul_hi_u32 s21, s17, s7
	s_addc_u32 s18, s18, s22
	s_addc_u32 s19, s21, 0
	s_mul_i32 s7, s17, s7
	s_add_u32 s7, s18, s7
	s_addc_u32 s18, 0, s19
	s_add_u32 s19, s6, s7
	s_cselect_b64 s[6:7], -1, 0
	s_cmp_lg_u64 s[6:7], 0
	s_addc_u32 s17, s17, s18
	s_mul_i32 s6, s13, s17
	s_mul_hi_u32 s7, s13, s19
	s_add_i32 s6, s7, s6
	s_mul_i32 s16, s16, s19
	s_add_i32 s6, s6, s16
	s_mul_i32 s13, s13, s19
	s_mul_hi_u32 s16, s17, s13
	s_mul_i32 s18, s17, s13
	s_mul_i32 s21, s19, s6
	s_mul_hi_u32 s13, s19, s13
	s_mul_hi_u32 s20, s19, s6
	s_add_u32 s13, s13, s21
	s_addc_u32 s20, 0, s20
	s_add_u32 s13, s13, s18
	s_mul_hi_u32 s7, s17, s6
	s_addc_u32 s13, s20, s16
	s_addc_u32 s7, s7, 0
	s_mul_i32 s6, s17, s6
	s_add_u32 s6, s13, s6
	s_addc_u32 s13, 0, s7
	s_add_u32 s16, s19, s6
	s_cselect_b64 s[6:7], -1, 0
	v_mov_b32_e32 v3, v2
	s_cmp_lg_u64 s[6:7], 0
	v_lshl_add_u64 v[4:5], v[0:1], 0, v[2:3]
	s_addc_u32 s13, s17, s13
	v_xor_b32_e32 v12, v4, v2
	v_xor_b32_e32 v3, v5, v2
	v_mad_u64_u32 v[4:5], s[6:7], v12, s13, 0
	v_mul_hi_u32 v6, v12, s16
	v_lshl_add_u64 v[4:5], v[6:7], 0, v[4:5]
	v_mad_u64_u32 v[10:11], s[6:7], v3, s16, 0
	v_add_co_u32_e32 v4, vcc, v4, v10
	v_mad_u64_u32 v[8:9], s[6:7], v3, s13, 0
	s_nop 0
	v_addc_co_u32_e32 v6, vcc, v5, v11, vcc
	s_nop 1
	v_addc_co_u32_e32 v9, vcc, 0, v9, vcc
	v_lshl_add_u64 v[4:5], v[6:7], 0, v[8:9]
	v_mul_lo_u32 v8, s15, v4
	v_mul_lo_u32 v9, s14, v5
	v_mad_u64_u32 v[6:7], s[6:7], s14, v4, 0
	v_add3_u32 v10, v7, v9, v8
	v_sub_u32_e32 v7, v3, v10
	v_mov_b32_e32 v8, s15
	v_sub_co_u32_e32 v11, vcc, v12, v6
	s_nop 1
	v_subb_co_u32_e64 v6, s[6:7], v7, v8, vcc
	v_subrev_co_u32_e64 v7, s[6:7], s14, v11
	v_subb_co_u32_e32 v3, vcc, v3, v10, vcc
	s_nop 0
	v_subbrev_co_u32_e64 v6, s[6:7], 0, v6, s[6:7]
	v_cmp_le_u32_e64 s[6:7], s15, v6
	v_cmp_le_u32_e32 vcc, s15, v3
	s_nop 0
	v_cndmask_b32_e64 v8, 0, -1, s[6:7]
	v_cmp_le_u32_e64 s[6:7], s14, v7
	s_nop 1
	v_cndmask_b32_e64 v7, 0, -1, s[6:7]
	v_cmp_eq_u32_e64 s[6:7], s15, v6
	s_nop 1
	v_cndmask_b32_e64 v12, v8, v7, s[6:7]
	v_lshl_add_u64 v[6:7], v[4:5], 0, 2
	v_lshl_add_u64 v[8:9], v[4:5], 0, 1
	v_cmp_ne_u32_e64 s[6:7], 0, v12
	s_nop 1
	v_cndmask_b32_e64 v7, v9, v7, s[6:7]
	v_cndmask_b32_e64 v9, 0, -1, vcc
	v_cmp_le_u32_e32 vcc, s14, v11
	s_nop 1
	v_cndmask_b32_e64 v10, 0, -1, vcc
	v_cmp_eq_u32_e32 vcc, s15, v3
	s_nop 1
	v_cndmask_b32_e32 v3, v9, v10, vcc
	v_cmp_ne_u32_e32 vcc, 0, v3
	s_nop 1
	v_cndmask_b32_e32 v3, v5, v7, vcc
	v_cndmask_b32_e64 v5, v8, v6, s[6:7]
	v_cndmask_b32_e32 v4, v4, v5, vcc
	v_xor_b32_e32 v5, s12, v2
	v_xor_b32_e32 v4, v4, v5
	v_xor_b32_e32 v3, v3, v5
	v_sub_co_u32_e32 v6, vcc, v4, v5
	s_nop 1
	v_subb_co_u32_e32 v7, vcc, v3, v5, vcc
.LBB63_3:
	s_andn2_saveexec_b64 s[6:7], s[8:9]
	s_cbranch_execz .LBB63_5
; %bb.4:
	v_cvt_f32_u32_e32 v3, s34
	s_sub_i32 s8, 0, s34
	v_mov_b32_e32 v7, 0
	v_rcp_iflag_f32_e32 v3, v3
	s_nop 0
	v_mul_f32_e32 v3, 0x4f7ffffe, v3
	v_cvt_u32_f32_e32 v3, v3
	v_mul_lo_u32 v4, s8, v3
	v_mul_hi_u32 v4, v3, v4
	v_add_u32_e32 v3, v3, v4
	v_mul_hi_u32 v3, v0, v3
	v_mul_lo_u32 v4, v3, s34
	v_sub_u32_e32 v4, v0, v4
	v_add_u32_e32 v5, 1, v3
	v_subrev_u32_e32 v6, s34, v4
	v_cmp_le_u32_e32 vcc, s34, v4
	s_nop 1
	v_cndmask_b32_e32 v4, v4, v6, vcc
	v_cndmask_b32_e32 v3, v3, v5, vcc
	v_add_u32_e32 v5, 1, v3
	v_cmp_le_u32_e32 vcc, s34, v4
	s_nop 1
	v_cndmask_b32_e32 v6, v3, v5, vcc
.LBB63_5:
	s_or_b64 exec, exec, s[6:7]
	v_or_b32_e32 v9, s11, v7
	v_mov_b32_e32 v8, 0
	v_cmp_ne_u64_e32 vcc, 0, v[8:9]
                                        ; implicit-def: $vgpr4_vgpr5
	s_and_saveexec_b64 s[6:7], vcc
	s_xor_b64 s[12:13], exec, s[6:7]
	s_cbranch_execz .LBB63_7
; %bb.6:
	s_ashr_i32 s6, s11, 31
	s_add_u32 s8, s10, s6
	s_mov_b32 s7, s6
	s_addc_u32 s9, s11, s6
	s_xor_b64 s[14:15], s[8:9], s[6:7]
	v_cvt_f32_u32_e32 v3, s14
	v_cvt_f32_u32_e32 v4, s15
	s_sub_u32 s8, 0, s14
	s_subb_u32 s9, 0, s15
	v_ashrrev_i32_e32 v10, 31, v7
	v_fmamk_f32 v3, v4, 0x4f800000, v3
	v_rcp_f32_e32 v3, v3
	v_mov_b32_e32 v11, v10
	v_mov_b32_e32 v13, v8
	v_mul_f32_e32 v3, 0x5f7ffffc, v3
	v_mul_f32_e32 v4, 0x2f800000, v3
	v_trunc_f32_e32 v4, v4
	v_fmamk_f32 v3, v4, 0xcf800000, v3
	v_cvt_u32_f32_e32 v4, v4
	v_cvt_u32_f32_e32 v3, v3
	v_readfirstlane_b32 s11, v4
	v_readfirstlane_b32 s6, v3
	s_mul_i32 s7, s8, s11
	s_mul_hi_u32 s17, s8, s6
	s_mul_i32 s16, s9, s6
	s_add_i32 s7, s17, s7
	s_add_i32 s7, s7, s16
	s_mul_i32 s18, s8, s6
	s_mul_i32 s17, s6, s7
	s_mul_hi_u32 s19, s6, s18
	s_mul_hi_u32 s16, s6, s7
	s_add_u32 s17, s19, s17
	s_addc_u32 s16, 0, s16
	s_mul_hi_u32 s20, s11, s18
	s_mul_i32 s18, s11, s18
	s_add_u32 s17, s17, s18
	s_mul_hi_u32 s19, s11, s7
	s_addc_u32 s16, s16, s20
	s_addc_u32 s17, s19, 0
	s_mul_i32 s7, s11, s7
	s_add_u32 s7, s16, s7
	s_addc_u32 s16, 0, s17
	s_add_u32 s17, s6, s7
	s_cselect_b64 s[6:7], -1, 0
	s_cmp_lg_u64 s[6:7], 0
	s_addc_u32 s11, s11, s16
	s_mul_i32 s6, s8, s11
	s_mul_hi_u32 s7, s8, s17
	s_add_i32 s6, s7, s6
	s_mul_i32 s9, s9, s17
	s_add_i32 s6, s6, s9
	s_mul_i32 s8, s8, s17
	s_mul_hi_u32 s9, s11, s8
	s_mul_i32 s16, s11, s8
	s_mul_i32 s19, s17, s6
	s_mul_hi_u32 s8, s17, s8
	s_mul_hi_u32 s18, s17, s6
	s_add_u32 s8, s8, s19
	s_addc_u32 s18, 0, s18
	s_add_u32 s8, s8, s16
	s_mul_hi_u32 s7, s11, s6
	s_addc_u32 s8, s18, s9
	s_addc_u32 s7, s7, 0
	s_mul_i32 s6, s11, s6
	s_add_u32 s6, s8, s6
	s_addc_u32 s8, 0, s7
	s_add_u32 s9, s17, s6
	s_cselect_b64 s[6:7], -1, 0
	s_cmp_lg_u64 s[6:7], 0
	v_lshl_add_u64 v[4:5], v[6:7], 0, v[10:11]
	s_addc_u32 s8, s11, s8
	v_xor_b32_e32 v9, v4, v10
	v_xor_b32_e32 v3, v5, v10
	v_mad_u64_u32 v[4:5], s[6:7], v9, s8, 0
	v_mul_hi_u32 v12, v9, s9
	v_lshl_add_u64 v[4:5], v[12:13], 0, v[4:5]
	v_mad_u64_u32 v[14:15], s[6:7], v3, s9, 0
	v_add_co_u32_e32 v4, vcc, v4, v14
	v_mad_u64_u32 v[12:13], s[6:7], v3, s8, 0
	s_nop 0
	v_addc_co_u32_e32 v4, vcc, v5, v15, vcc
	v_mov_b32_e32 v5, v8
	s_nop 0
	v_addc_co_u32_e32 v13, vcc, 0, v13, vcc
	v_lshl_add_u64 v[4:5], v[4:5], 0, v[12:13]
	v_mul_lo_u32 v8, s15, v4
	v_mul_lo_u32 v11, s14, v5
	v_mad_u64_u32 v[4:5], s[6:7], s14, v4, 0
	v_add3_u32 v5, v5, v11, v8
	v_sub_u32_e32 v8, v3, v5
	v_mov_b32_e32 v11, s15
	v_sub_co_u32_e32 v4, vcc, v9, v4
	s_nop 1
	v_subb_co_u32_e64 v8, s[6:7], v8, v11, vcc
	v_subrev_co_u32_e64 v9, s[6:7], s14, v4
	v_subb_co_u32_e32 v3, vcc, v3, v5, vcc
	s_nop 0
	v_subbrev_co_u32_e64 v12, s[8:9], 0, v8, s[6:7]
	v_cmp_le_u32_e64 s[8:9], s15, v12
	v_subb_co_u32_e64 v8, s[6:7], v8, v11, s[6:7]
	s_nop 0
	v_cndmask_b32_e64 v13, 0, -1, s[8:9]
	v_cmp_le_u32_e64 s[8:9], s14, v9
	v_subrev_co_u32_e64 v11, s[6:7], s14, v9
	s_nop 0
	v_cndmask_b32_e64 v14, 0, -1, s[8:9]
	v_cmp_eq_u32_e64 s[8:9], s15, v12
	v_subbrev_co_u32_e64 v8, s[6:7], 0, v8, s[6:7]
	s_nop 0
	v_cndmask_b32_e64 v13, v13, v14, s[8:9]
	v_cmp_le_u32_e32 vcc, s15, v3
	v_cmp_ne_u32_e64 s[6:7], 0, v13
	s_nop 0
	v_cndmask_b32_e64 v5, 0, -1, vcc
	v_cmp_le_u32_e32 vcc, s14, v4
	v_cndmask_b32_e64 v8, v12, v8, s[6:7]
	s_nop 0
	v_cndmask_b32_e64 v12, 0, -1, vcc
	v_cmp_eq_u32_e32 vcc, s15, v3
	s_nop 1
	v_cndmask_b32_e32 v5, v5, v12, vcc
	v_cmp_ne_u32_e32 vcc, 0, v5
	v_cndmask_b32_e64 v5, v9, v11, s[6:7]
	s_nop 0
	v_cndmask_b32_e32 v4, v4, v5, vcc
	v_cndmask_b32_e32 v3, v3, v8, vcc
	v_xor_b32_e32 v4, v4, v10
	v_xor_b32_e32 v3, v3, v10
	v_sub_co_u32_e32 v4, vcc, v4, v10
	s_nop 1
	v_subb_co_u32_e32 v5, vcc, v3, v10, vcc
.LBB63_7:
	s_or_saveexec_b64 s[6:7], s[12:13]
	s_load_dwordx2 s[44:45], s[0:1], 0xa8
	s_load_dwordx8 s[24:31], s[0:1], 0x88
	s_xor_b64 exec, exec, s[6:7]
	s_cbranch_execz .LBB63_9
; %bb.8:
	v_cvt_f32_u32_e32 v3, s10
	s_sub_i32 s8, 0, s10
	v_mov_b32_e32 v5, 0
	v_rcp_iflag_f32_e32 v3, v3
	s_nop 0
	v_mul_f32_e32 v3, 0x4f7ffffe, v3
	v_cvt_u32_f32_e32 v3, v3
	v_mul_lo_u32 v4, s8, v3
	v_mul_hi_u32 v4, v3, v4
	v_add_u32_e32 v3, v3, v4
	v_mul_hi_u32 v3, v6, v3
	v_mul_lo_u32 v3, v3, s10
	v_sub_u32_e32 v3, v6, v3
	v_subrev_u32_e32 v4, s10, v3
	v_cmp_le_u32_e32 vcc, s10, v3
	s_nop 1
	v_cndmask_b32_e32 v3, v3, v4, vcc
	v_subrev_u32_e32 v4, s10, v3
	v_cmp_le_u32_e32 vcc, s10, v3
	s_nop 1
	v_cndmask_b32_e32 v4, v3, v4, vcc
.LBB63_9:
	s_or_b64 exec, exec, s[6:7]
	s_load_dwordx2 s[46:47], s[0:1], 0x58
	s_load_dwordx2 s[48:49], s[0:1], 0x0
	v_or_b32_e32 v11, s5, v1
	v_mov_b32_e32 v10, 0
	v_cmp_ne_u64_e32 vcc, 0, v[10:11]
                                        ; implicit-def: $vgpr8_vgpr9
	s_and_saveexec_b64 s[6:7], vcc
	s_xor_b64 s[8:9], exec, s[6:7]
	s_cbranch_execz .LBB63_11
; %bb.10:
	s_ashr_i32 s10, s5, 31
	s_add_u32 s6, s2, s10
	s_mov_b32 s11, s10
	s_addc_u32 s7, s5, s10
	s_xor_b64 s[12:13], s[6:7], s[10:11]
	v_cvt_f32_u32_e32 v3, s12
	v_cvt_f32_u32_e32 v8, s13
	s_sub_u32 s5, 0, s12
	s_subb_u32 s11, 0, s13
	v_mov_b32_e32 v13, v10
	v_fmamk_f32 v3, v8, 0x4f800000, v3
	v_rcp_f32_e32 v3, v3
	s_nop 0
	v_mul_f32_e32 v3, 0x5f7ffffc, v3
	v_mul_f32_e32 v8, 0x2f800000, v3
	v_trunc_f32_e32 v8, v8
	v_fmamk_f32 v3, v8, 0xcf800000, v3
	v_cvt_u32_f32_e32 v8, v8
	v_cvt_u32_f32_e32 v3, v3
	v_readfirstlane_b32 s14, v8
	v_readfirstlane_b32 s6, v3
	s_mul_i32 s7, s5, s14
	s_mul_hi_u32 s16, s5, s6
	s_mul_i32 s15, s11, s6
	s_add_i32 s7, s16, s7
	s_add_i32 s7, s7, s15
	s_mul_i32 s17, s5, s6
	s_mul_i32 s16, s6, s7
	s_mul_hi_u32 s18, s6, s17
	s_mul_hi_u32 s15, s6, s7
	s_add_u32 s16, s18, s16
	s_addc_u32 s15, 0, s15
	s_mul_hi_u32 s19, s14, s17
	s_mul_i32 s17, s14, s17
	s_add_u32 s16, s16, s17
	s_mul_hi_u32 s18, s14, s7
	s_addc_u32 s15, s15, s19
	s_addc_u32 s16, s18, 0
	s_mul_i32 s7, s14, s7
	s_add_u32 s7, s15, s7
	s_addc_u32 s15, 0, s16
	s_add_u32 s16, s6, s7
	s_cselect_b64 s[6:7], -1, 0
	s_cmp_lg_u64 s[6:7], 0
	s_addc_u32 s14, s14, s15
	s_mul_i32 s6, s5, s14
	s_mul_hi_u32 s7, s5, s16
	s_add_i32 s6, s7, s6
	s_mul_i32 s11, s11, s16
	s_add_i32 s6, s6, s11
	s_mul_i32 s5, s5, s16
	s_mul_hi_u32 s11, s14, s5
	s_mul_i32 s15, s14, s5
	s_mul_i32 s18, s16, s6
	s_mul_hi_u32 s5, s16, s5
	s_mul_hi_u32 s17, s16, s6
	s_add_u32 s5, s5, s18
	s_addc_u32 s17, 0, s17
	s_add_u32 s5, s5, s15
	s_mul_hi_u32 s7, s14, s6
	s_addc_u32 s5, s17, s11
	s_addc_u32 s7, s7, 0
	s_mul_i32 s6, s14, s6
	s_add_u32 s5, s5, s6
	s_addc_u32 s11, 0, s7
	s_add_u32 s5, s16, s5
	s_cselect_b64 s[6:7], -1, 0
	v_mov_b32_e32 v3, v2
	s_cmp_lg_u64 s[6:7], 0
	v_lshl_add_u64 v[8:9], v[0:1], 0, v[2:3]
	s_addc_u32 s11, s14, s11
	v_xor_b32_e32 v16, v8, v2
	v_xor_b32_e32 v3, v9, v2
	v_mad_u64_u32 v[8:9], s[6:7], v16, s11, 0
	v_mul_hi_u32 v12, v16, s5
	v_lshl_add_u64 v[8:9], v[12:13], 0, v[8:9]
	v_mad_u64_u32 v[14:15], s[6:7], v3, s5, 0
	v_add_co_u32_e32 v8, vcc, v8, v14
	v_mad_u64_u32 v[12:13], s[6:7], v3, s11, 0
	s_nop 0
	v_addc_co_u32_e32 v8, vcc, v9, v15, vcc
	v_mov_b32_e32 v9, v10
	s_nop 0
	v_addc_co_u32_e32 v13, vcc, 0, v13, vcc
	v_lshl_add_u64 v[8:9], v[8:9], 0, v[12:13]
	v_mul_lo_u32 v12, s13, v8
	v_mul_lo_u32 v13, s12, v9
	v_mad_u64_u32 v[10:11], s[6:7], s12, v8, 0
	v_add3_u32 v14, v11, v13, v12
	v_sub_u32_e32 v11, v3, v14
	v_mov_b32_e32 v12, s13
	v_sub_co_u32_e32 v15, vcc, v16, v10
	v_xor_b32_e32 v2, s10, v2
	s_nop 0
	v_subb_co_u32_e64 v10, s[6:7], v11, v12, vcc
	v_subrev_co_u32_e64 v11, s[6:7], s12, v15
	v_subb_co_u32_e32 v3, vcc, v3, v14, vcc
	s_nop 0
	v_subbrev_co_u32_e64 v10, s[6:7], 0, v10, s[6:7]
	v_cmp_le_u32_e64 s[6:7], s13, v10
	v_cmp_le_u32_e32 vcc, s13, v3
	s_nop 0
	v_cndmask_b32_e64 v12, 0, -1, s[6:7]
	v_cmp_le_u32_e64 s[6:7], s12, v11
	s_nop 1
	v_cndmask_b32_e64 v11, 0, -1, s[6:7]
	v_cmp_eq_u32_e64 s[6:7], s13, v10
	s_nop 1
	v_cndmask_b32_e64 v16, v12, v11, s[6:7]
	v_lshl_add_u64 v[10:11], v[8:9], 0, 2
	v_lshl_add_u64 v[12:13], v[8:9], 0, 1
	v_cmp_ne_u32_e64 s[6:7], 0, v16
	s_nop 1
	v_cndmask_b32_e64 v11, v13, v11, s[6:7]
	v_cndmask_b32_e64 v13, 0, -1, vcc
	v_cmp_le_u32_e32 vcc, s12, v15
	s_nop 1
	v_cndmask_b32_e64 v14, 0, -1, vcc
	v_cmp_eq_u32_e32 vcc, s13, v3
	s_nop 1
	v_cndmask_b32_e32 v3, v13, v14, vcc
	v_cmp_ne_u32_e32 vcc, 0, v3
	s_nop 1
	v_cndmask_b32_e32 v3, v9, v11, vcc
	v_cndmask_b32_e64 v9, v12, v10, s[6:7]
	v_cndmask_b32_e32 v8, v8, v9, vcc
	v_xor_b32_e32 v8, v8, v2
	v_xor_b32_e32 v3, v3, v2
	v_sub_co_u32_e32 v8, vcc, v8, v2
	s_nop 1
	v_subb_co_u32_e32 v9, vcc, v3, v2, vcc
.LBB63_11:
	s_or_saveexec_b64 s[6:7], s[8:9]
	s_load_dwordx16 s[8:23], s[0:1], 0x18
	s_xor_b64 exec, exec, s[6:7]
	s_cbranch_execz .LBB63_13
; %bb.12:
	v_cvt_f32_u32_e32 v2, s2
	s_sub_i32 s5, 0, s2
	v_rcp_iflag_f32_e32 v2, v2
	s_nop 0
	v_mul_f32_e32 v2, 0x4f7ffffe, v2
	v_cvt_u32_f32_e32 v2, v2
	v_mul_lo_u32 v3, s5, v2
	v_mul_hi_u32 v3, v2, v3
	v_add_u32_e32 v2, v2, v3
	v_mul_hi_u32 v2, v0, v2
	v_mul_lo_u32 v3, v2, s2
	v_sub_u32_e32 v3, v0, v3
	v_add_u32_e32 v8, 1, v2
	v_subrev_u32_e32 v9, s2, v3
	v_cmp_le_u32_e32 vcc, s2, v3
	s_nop 1
	v_cndmask_b32_e32 v3, v3, v9, vcc
	v_cndmask_b32_e32 v2, v2, v8, vcc
	v_add_u32_e32 v8, 1, v2
	v_cmp_le_u32_e32 vcc, s2, v3
	v_mov_b32_e32 v9, 0
	s_nop 0
	v_cndmask_b32_e32 v8, v2, v8, vcc
.LBB63_13:
	s_or_b64 exec, exec, s[6:7]
	s_load_dwordx8 s[36:43], s[0:1], 0xb0
	v_mad_u64_u32 v[2:3], s[6:7], v6, s34, 0
	v_mul_lo_u32 v7, v7, s34
	v_mul_lo_u32 v10, v6, s35
	s_waitcnt lgkmcnt(0)
	s_sub_u32 s6, 0, s36
	s_subb_u32 s7, 0, s37
	s_sub_u32 s34, 0, s38
	s_subb_u32 s35, 0, s39
	;; [unrolled: 2-line block ×3, first 2 shown]
	v_cmp_gt_i64_e64 s[52:53], s[6:7], 0
	s_and_b64 s[52:53], s[52:53], exec
	s_cselect_b32 s2, s7, 0
	s_cselect_b32 s5, s6, 0
	v_cmp_gt_i64_e64 s[6:7], s[36:37], 0
	s_and_b64 s[6:7], s[6:7], exec
	v_cmp_gt_i64_e64 s[6:7], s[34:35], 0
	s_cselect_b32 s53, s37, 0
	s_cselect_b32 s52, s36, 0
	s_and_b64 s[6:7], s[6:7], exec
	v_add3_u32 v3, v3, v10, v7
	v_sub_co_u32_e32 v0, vcc, v0, v2
	v_cmp_gt_i64_e64 s[6:7], s[38:39], 0
	s_nop 0
	v_subb_co_u32_e32 v1, vcc, v1, v3, vcc
	s_cselect_b32 s33, s35, 0
	s_cselect_b32 s54, s34, 0
	s_and_b64 s[6:7], s[6:7], exec
	v_cmp_gt_i64_e64 s[6:7], s[50:51], 0
	v_mov_b32_e32 v2, s37
	v_subrev_co_u32_e32 v3, vcc, s36, v0
	s_cselect_b32 s35, s39, 0
	s_cselect_b32 s34, s38, 0
	s_and_b64 s[6:7], s[6:7], exec
	v_subb_co_u32_e32 v2, vcc, v1, v2, vcc
	v_cmp_gt_i64_e64 s[6:7], s[40:41], 0
	v_ashrrev_i32_e32 v6, 31, v2
	s_cselect_b32 s55, s51, 0
	s_cselect_b32 s56, s50, 0
	s_and_b64 s[6:7], s[6:7], exec
	v_xor_b32_e32 v7, v2, v6
	v_xor_b32_e32 v2, v3, v6
	s_cselect_b32 s7, s41, 0
	s_cselect_b32 s6, s40, 0
	v_sub_co_u32_e32 v2, vcc, v2, v6
	s_add_u32 s50, s36, s12
	s_nop 0
	v_subb_co_u32_e32 v3, vcc, v7, v6, vcc
	s_addc_u32 s51, s37, s13
	v_mov_b32_e32 v7, s51
	v_subrev_co_u32_e32 v6, vcc, s50, v0
	s_lshl_b64 s[36:37], s[36:37], 1
	s_nop 0
	v_subb_co_u32_e32 v7, vcc, v1, v7, vcc
	s_not_b64 s[50:51], s[52:53]
	v_lshl_add_u64 v[6:7], v[6:7], 0, 1
	s_add_u32 s36, s36, s50
	v_ashrrev_i32_e32 v10, 31, v7
	s_addc_u32 s37, s37, s51
	v_xor_b32_e32 v6, v6, v10
	s_add_u32 s5, s36, s5
	v_xor_b32_e32 v7, v7, v10
	v_sub_co_u32_e32 v6, vcc, v6, v10
	s_addc_u32 s2, s37, s2
	s_nop 0
	v_subb_co_u32_e32 v7, vcc, v7, v10, vcc
	s_add_u32 s5, s5, s12
	s_addc_u32 s2, s2, s13
	v_lshl_add_u64 v[6:7], v[0:1], 0, v[6:7]
	v_mov_b32_e32 v10, s2
	v_sub_co_u32_e32 v6, vcc, s5, v6
	s_add_u32 s2, s38, s10
	s_nop 0
	v_subb_co_u32_e32 v7, vcc, v10, v7, vcc
	v_lshl_add_u64 v[2:3], v[6:7], 0, v[2:3]
	v_mov_b32_e32 v6, s39
	v_subrev_co_u32_e32 v7, vcc, s38, v4
	s_addc_u32 s5, s39, s11
	s_nop 0
	v_subb_co_u32_e32 v6, vcc, v5, v6, vcc
	v_ashrrev_i32_e32 v10, 31, v6
	v_xor_b32_e32 v11, v6, v10
	v_xor_b32_e32 v6, v7, v10
	v_sub_co_u32_e32 v6, vcc, v6, v10
	s_lshl_b64 s[12:13], s[38:39], 1
	s_nop 0
	v_subb_co_u32_e32 v7, vcc, v11, v10, vcc
	v_mov_b32_e32 v11, s5
	v_subrev_co_u32_e32 v10, vcc, s2, v4
	s_not_b64 s[34:35], s[34:35]
	s_nop 0
	v_subb_co_u32_e32 v11, vcc, v5, v11, vcc
	v_lshl_add_u64 v[10:11], v[10:11], 0, 1
	s_add_u32 s2, s12, s34
	v_ashrrev_i32_e32 v12, 31, v11
	s_addc_u32 s5, s13, s35
	v_xor_b32_e32 v10, v10, v12
	s_add_u32 s2, s2, s54
	v_xor_b32_e32 v11, v11, v12
	v_sub_co_u32_e32 v10, vcc, v10, v12
	s_addc_u32 s5, s5, s33
	s_nop 0
	v_subb_co_u32_e32 v11, vcc, v11, v12, vcc
	s_add_u32 s2, s2, s10
	s_addc_u32 s5, s5, s11
	v_lshl_add_u64 v[10:11], v[4:5], 0, v[10:11]
	v_mov_b32_e32 v12, s5
	v_sub_co_u32_e32 v10, vcc, s2, v10
	s_add_u32 s2, s40, s8
	s_nop 0
	v_subb_co_u32_e32 v11, vcc, v12, v11, vcc
	v_lshl_add_u64 v[6:7], v[10:11], 0, v[6:7]
	v_mov_b32_e32 v10, s41
	v_subrev_co_u32_e32 v11, vcc, s40, v8
	s_addc_u32 s5, s41, s9
	s_nop 0
	v_subb_co_u32_e32 v10, vcc, v9, v10, vcc
	v_ashrrev_i32_e32 v12, 31, v10
	v_xor_b32_e32 v13, v10, v12
	v_xor_b32_e32 v10, v11, v12
	v_sub_co_u32_e32 v10, vcc, v10, v12
	s_lshl_b64 s[10:11], s[40:41], 1
	s_nop 0
	v_subb_co_u32_e32 v11, vcc, v13, v12, vcc
	s_not_b64 s[6:7], s[6:7]
	v_mov_b32_e32 v13, s5
	v_subrev_co_u32_e32 v12, vcc, s2, v8
	s_add_u32 s2, s10, s6
	s_nop 0
	v_subb_co_u32_e32 v13, vcc, v9, v13, vcc
	s_addc_u32 s5, s11, s7
	v_lshl_add_u64 v[12:13], v[12:13], 0, 1
	s_add_u32 s2, s2, s56
	s_load_dwordx2 s[0:1], s[0:1], 0xd0
	v_ashrrev_i32_e32 v14, 31, v13
	s_addc_u32 s5, s5, s55
	v_xor_b32_e32 v12, v12, v14
	s_add_u32 s2, s2, s8
	v_xor_b32_e32 v13, v13, v14
	v_sub_co_u32_e32 v12, vcc, v12, v14
	s_addc_u32 s5, s5, s9
	s_nop 0
	v_subb_co_u32_e32 v13, vcc, v13, v14, vcc
	v_mov_b32_e32 v14, s5
	s_add_u32 s5, s42, s3
	s_addc_u32 s6, s43, 0
	s_waitcnt lgkmcnt(0)
	s_add_u32 s4, s0, s4
	s_addc_u32 s7, s1, 0
	s_mul_i32 s0, s14, s7
	s_mul_hi_u32 s1, s14, s4
	s_add_i32 s0, s1, s0
	s_mul_i32 s1, s15, s4
	s_add_i32 s1, s0, s1
	s_mul_i32 s0, s14, s4
	v_lshl_add_u64 v[12:13], v[8:9], 0, v[12:13]
	s_lshl_b64 s[0:1], s[0:1], 2
	v_sub_co_u32_e32 v12, vcc, s2, v12
	s_add_u32 s2, s48, s0
	s_addc_u32 s3, s49, s1
	s_mul_i32 s0, s16, s6
	s_mul_hi_u32 s1, s16, s5
	s_add_i32 s0, s1, s0
	s_mul_i32 s1, s17, s5
	s_add_i32 s1, s0, s1
	s_mul_i32 s0, s16, s5
	v_subb_co_u32_e32 v13, vcc, v14, v13, vcc
	s_lshl_b64 s[0:1], s[0:1], 2
	v_lshl_add_u64 v[10:11], v[12:13], 0, v[10:11]
	s_add_u32 s0, s2, s0
	s_addc_u32 s1, s3, s1
	v_mul_lo_u32 v12, v11, s18
	v_mul_lo_u32 v13, v10, s19
	v_mad_u64_u32 v[10:11], s[2:3], v10, s18, 0
	v_add3_u32 v11, v11, v13, v12
	v_lshl_add_u64 v[10:11], v[10:11], 2, s[0:1]
	v_mul_lo_u32 v12, v7, s20
	v_mul_lo_u32 v13, v6, s21
	v_mad_u64_u32 v[6:7], s[0:1], v6, s20, 0
	v_add3_u32 v7, v7, v13, v12
	v_lshl_add_u64 v[6:7], v[6:7], 2, v[10:11]
	;; [unrolled: 5-line block ×3, first 2 shown]
	global_load_dword v6, v[2:3], off
	s_mul_i32 s0, s24, s7
	s_mul_hi_u32 s1, s24, s4
	s_add_i32 s0, s1, s0
	s_mul_i32 s1, s25, s4
	s_add_i32 s1, s0, s1
	s_mul_i32 s0, s24, s4
	s_lshl_b64 s[0:1], s[0:1], 2
	s_add_u32 s2, s46, s0
	s_addc_u32 s3, s47, s1
	s_mul_i32 s0, s26, s6
	s_mul_hi_u32 s1, s26, s5
	s_add_i32 s0, s1, s0
	s_mul_i32 s1, s27, s5
	s_add_i32 s1, s0, s1
	s_mul_i32 s0, s26, s5
	s_lshl_b64 s[0:1], s[0:1], 2
	s_add_u32 s0, s2, s0
	s_addc_u32 s1, s3, s1
	v_mul_lo_u32 v7, v9, s28
	v_mul_lo_u32 v9, v8, s29
	v_mad_u64_u32 v[2:3], s[2:3], v8, s28, 0
	v_add3_u32 v3, v3, v9, v7
	v_lshl_add_u64 v[2:3], v[2:3], 2, s[0:1]
	v_mul_lo_u32 v7, v5, s30
	v_mul_lo_u32 v8, v4, s31
	v_mad_u64_u32 v[4:5], s[0:1], v4, s30, 0
	v_add3_u32 v5, v5, v8, v7
	v_lshl_add_u64 v[2:3], v[4:5], 2, v[2:3]
	;; [unrolled: 5-line block ×3, first 2 shown]
	s_waitcnt vmcnt(0)
	global_store_dword v[0:1], v6, off
.LBB63_14:
	s_endpgm
	.section	.rodata,"a",@progbits
	.p2align	6, 0x0
	.amdhsa_kernel _ZN2at6native12_GLOBAL__N_127reflection_pad3d_out_kernelIfEEvN5torch10headeronly6detail27GenericPackedTensorAccessorINS5_14TensorAccessorIN3c108ArrayRefIlEEKT_Lm4ENS4_16DefaultPtrTraitsElEENS_6detail16IndexBoundsCheckILm5ElEESC_Lm5ESD_lEENS6_INS7_ISA_SB_Lm4ESD_lEESH_SB_Lm5ESD_lEElllll
		.amdhsa_group_segment_fixed_size 0
		.amdhsa_private_segment_fixed_size 0
		.amdhsa_kernarg_size 472
		.amdhsa_user_sgpr_count 2
		.amdhsa_user_sgpr_dispatch_ptr 0
		.amdhsa_user_sgpr_queue_ptr 0
		.amdhsa_user_sgpr_kernarg_segment_ptr 1
		.amdhsa_user_sgpr_dispatch_id 0
		.amdhsa_user_sgpr_kernarg_preload_length 0
		.amdhsa_user_sgpr_kernarg_preload_offset 0
		.amdhsa_user_sgpr_private_segment_size 0
		.amdhsa_uses_dynamic_stack 0
		.amdhsa_enable_private_segment 0
		.amdhsa_system_sgpr_workgroup_id_x 1
		.amdhsa_system_sgpr_workgroup_id_y 1
		.amdhsa_system_sgpr_workgroup_id_z 1
		.amdhsa_system_sgpr_workgroup_info 0
		.amdhsa_system_vgpr_workitem_id 0
		.amdhsa_next_free_vgpr 17
		.amdhsa_next_free_sgpr 57
		.amdhsa_accum_offset 20
		.amdhsa_reserve_vcc 1
		.amdhsa_float_round_mode_32 0
		.amdhsa_float_round_mode_16_64 0
		.amdhsa_float_denorm_mode_32 3
		.amdhsa_float_denorm_mode_16_64 3
		.amdhsa_dx10_clamp 1
		.amdhsa_ieee_mode 1
		.amdhsa_fp16_overflow 0
		.amdhsa_tg_split 0
		.amdhsa_exception_fp_ieee_invalid_op 0
		.amdhsa_exception_fp_denorm_src 0
		.amdhsa_exception_fp_ieee_div_zero 0
		.amdhsa_exception_fp_ieee_overflow 0
		.amdhsa_exception_fp_ieee_underflow 0
		.amdhsa_exception_fp_ieee_inexact 0
		.amdhsa_exception_int_div_zero 0
	.end_amdhsa_kernel
	.section	.text._ZN2at6native12_GLOBAL__N_127reflection_pad3d_out_kernelIfEEvN5torch10headeronly6detail27GenericPackedTensorAccessorINS5_14TensorAccessorIN3c108ArrayRefIlEEKT_Lm4ENS4_16DefaultPtrTraitsElEENS_6detail16IndexBoundsCheckILm5ElEESC_Lm5ESD_lEENS6_INS7_ISA_SB_Lm4ESD_lEESH_SB_Lm5ESD_lEElllll,"axG",@progbits,_ZN2at6native12_GLOBAL__N_127reflection_pad3d_out_kernelIfEEvN5torch10headeronly6detail27GenericPackedTensorAccessorINS5_14TensorAccessorIN3c108ArrayRefIlEEKT_Lm4ENS4_16DefaultPtrTraitsElEENS_6detail16IndexBoundsCheckILm5ElEESC_Lm5ESD_lEENS6_INS7_ISA_SB_Lm4ESD_lEESH_SB_Lm5ESD_lEElllll,comdat
.Lfunc_end63:
	.size	_ZN2at6native12_GLOBAL__N_127reflection_pad3d_out_kernelIfEEvN5torch10headeronly6detail27GenericPackedTensorAccessorINS5_14TensorAccessorIN3c108ArrayRefIlEEKT_Lm4ENS4_16DefaultPtrTraitsElEENS_6detail16IndexBoundsCheckILm5ElEESC_Lm5ESD_lEENS6_INS7_ISA_SB_Lm4ESD_lEESH_SB_Lm5ESD_lEElllll, .Lfunc_end63-_ZN2at6native12_GLOBAL__N_127reflection_pad3d_out_kernelIfEEvN5torch10headeronly6detail27GenericPackedTensorAccessorINS5_14TensorAccessorIN3c108ArrayRefIlEEKT_Lm4ENS4_16DefaultPtrTraitsElEENS_6detail16IndexBoundsCheckILm5ElEESC_Lm5ESD_lEENS6_INS7_ISA_SB_Lm4ESD_lEESH_SB_Lm5ESD_lEElllll
                                        ; -- End function
	.set _ZN2at6native12_GLOBAL__N_127reflection_pad3d_out_kernelIfEEvN5torch10headeronly6detail27GenericPackedTensorAccessorINS5_14TensorAccessorIN3c108ArrayRefIlEEKT_Lm4ENS4_16DefaultPtrTraitsElEENS_6detail16IndexBoundsCheckILm5ElEESC_Lm5ESD_lEENS6_INS7_ISA_SB_Lm4ESD_lEESH_SB_Lm5ESD_lEElllll.num_vgpr, 17
	.set _ZN2at6native12_GLOBAL__N_127reflection_pad3d_out_kernelIfEEvN5torch10headeronly6detail27GenericPackedTensorAccessorINS5_14TensorAccessorIN3c108ArrayRefIlEEKT_Lm4ENS4_16DefaultPtrTraitsElEENS_6detail16IndexBoundsCheckILm5ElEESC_Lm5ESD_lEENS6_INS7_ISA_SB_Lm4ESD_lEESH_SB_Lm5ESD_lEElllll.num_agpr, 0
	.set _ZN2at6native12_GLOBAL__N_127reflection_pad3d_out_kernelIfEEvN5torch10headeronly6detail27GenericPackedTensorAccessorINS5_14TensorAccessorIN3c108ArrayRefIlEEKT_Lm4ENS4_16DefaultPtrTraitsElEENS_6detail16IndexBoundsCheckILm5ElEESC_Lm5ESD_lEENS6_INS7_ISA_SB_Lm4ESD_lEESH_SB_Lm5ESD_lEElllll.numbered_sgpr, 57
	.set _ZN2at6native12_GLOBAL__N_127reflection_pad3d_out_kernelIfEEvN5torch10headeronly6detail27GenericPackedTensorAccessorINS5_14TensorAccessorIN3c108ArrayRefIlEEKT_Lm4ENS4_16DefaultPtrTraitsElEENS_6detail16IndexBoundsCheckILm5ElEESC_Lm5ESD_lEENS6_INS7_ISA_SB_Lm4ESD_lEESH_SB_Lm5ESD_lEElllll.num_named_barrier, 0
	.set _ZN2at6native12_GLOBAL__N_127reflection_pad3d_out_kernelIfEEvN5torch10headeronly6detail27GenericPackedTensorAccessorINS5_14TensorAccessorIN3c108ArrayRefIlEEKT_Lm4ENS4_16DefaultPtrTraitsElEENS_6detail16IndexBoundsCheckILm5ElEESC_Lm5ESD_lEENS6_INS7_ISA_SB_Lm4ESD_lEESH_SB_Lm5ESD_lEElllll.private_seg_size, 0
	.set _ZN2at6native12_GLOBAL__N_127reflection_pad3d_out_kernelIfEEvN5torch10headeronly6detail27GenericPackedTensorAccessorINS5_14TensorAccessorIN3c108ArrayRefIlEEKT_Lm4ENS4_16DefaultPtrTraitsElEENS_6detail16IndexBoundsCheckILm5ElEESC_Lm5ESD_lEENS6_INS7_ISA_SB_Lm4ESD_lEESH_SB_Lm5ESD_lEElllll.uses_vcc, 1
	.set _ZN2at6native12_GLOBAL__N_127reflection_pad3d_out_kernelIfEEvN5torch10headeronly6detail27GenericPackedTensorAccessorINS5_14TensorAccessorIN3c108ArrayRefIlEEKT_Lm4ENS4_16DefaultPtrTraitsElEENS_6detail16IndexBoundsCheckILm5ElEESC_Lm5ESD_lEENS6_INS7_ISA_SB_Lm4ESD_lEESH_SB_Lm5ESD_lEElllll.uses_flat_scratch, 0
	.set _ZN2at6native12_GLOBAL__N_127reflection_pad3d_out_kernelIfEEvN5torch10headeronly6detail27GenericPackedTensorAccessorINS5_14TensorAccessorIN3c108ArrayRefIlEEKT_Lm4ENS4_16DefaultPtrTraitsElEENS_6detail16IndexBoundsCheckILm5ElEESC_Lm5ESD_lEENS6_INS7_ISA_SB_Lm4ESD_lEESH_SB_Lm5ESD_lEElllll.has_dyn_sized_stack, 0
	.set _ZN2at6native12_GLOBAL__N_127reflection_pad3d_out_kernelIfEEvN5torch10headeronly6detail27GenericPackedTensorAccessorINS5_14TensorAccessorIN3c108ArrayRefIlEEKT_Lm4ENS4_16DefaultPtrTraitsElEENS_6detail16IndexBoundsCheckILm5ElEESC_Lm5ESD_lEENS6_INS7_ISA_SB_Lm4ESD_lEESH_SB_Lm5ESD_lEElllll.has_recursion, 0
	.set _ZN2at6native12_GLOBAL__N_127reflection_pad3d_out_kernelIfEEvN5torch10headeronly6detail27GenericPackedTensorAccessorINS5_14TensorAccessorIN3c108ArrayRefIlEEKT_Lm4ENS4_16DefaultPtrTraitsElEENS_6detail16IndexBoundsCheckILm5ElEESC_Lm5ESD_lEENS6_INS7_ISA_SB_Lm4ESD_lEESH_SB_Lm5ESD_lEElllll.has_indirect_call, 0
	.section	.AMDGPU.csdata,"",@progbits
; Kernel info:
; codeLenInByte = 3652
; TotalNumSgprs: 63
; NumVgprs: 17
; NumAgprs: 0
; TotalNumVgprs: 17
; ScratchSize: 0
; MemoryBound: 0
; FloatMode: 240
; IeeeMode: 1
; LDSByteSize: 0 bytes/workgroup (compile time only)
; SGPRBlocks: 7
; VGPRBlocks: 2
; NumSGPRsForWavesPerEU: 63
; NumVGPRsForWavesPerEU: 17
; AccumOffset: 20
; Occupancy: 8
; WaveLimiterHint : 0
; COMPUTE_PGM_RSRC2:SCRATCH_EN: 0
; COMPUTE_PGM_RSRC2:USER_SGPR: 2
; COMPUTE_PGM_RSRC2:TRAP_HANDLER: 0
; COMPUTE_PGM_RSRC2:TGID_X_EN: 1
; COMPUTE_PGM_RSRC2:TGID_Y_EN: 1
; COMPUTE_PGM_RSRC2:TGID_Z_EN: 1
; COMPUTE_PGM_RSRC2:TIDIG_COMP_CNT: 0
; COMPUTE_PGM_RSRC3_GFX90A:ACCUM_OFFSET: 4
; COMPUTE_PGM_RSRC3_GFX90A:TG_SPLIT: 0
	.section	.text._ZN2at6native12_GLOBAL__N_127reflection_pad3d_out_kernelIN3c107complexIdEEEEvN5torch10headeronly6detail27GenericPackedTensorAccessorINS8_14TensorAccessorINS3_8ArrayRefIlEEKT_Lm4ENS7_16DefaultPtrTraitsElEENS_6detail16IndexBoundsCheckILm5ElEESE_Lm5ESF_lEENS9_INSA_ISC_SD_Lm4ESF_lEESJ_SD_Lm5ESF_lEElllll,"axG",@progbits,_ZN2at6native12_GLOBAL__N_127reflection_pad3d_out_kernelIN3c107complexIdEEEEvN5torch10headeronly6detail27GenericPackedTensorAccessorINS8_14TensorAccessorINS3_8ArrayRefIlEEKT_Lm4ENS7_16DefaultPtrTraitsElEENS_6detail16IndexBoundsCheckILm5ElEESE_Lm5ESF_lEENS9_INSA_ISC_SD_Lm4ESF_lEESJ_SD_Lm5ESF_lEElllll,comdat
	.globl	_ZN2at6native12_GLOBAL__N_127reflection_pad3d_out_kernelIN3c107complexIdEEEEvN5torch10headeronly6detail27GenericPackedTensorAccessorINS8_14TensorAccessorINS3_8ArrayRefIlEEKT_Lm4ENS7_16DefaultPtrTraitsElEENS_6detail16IndexBoundsCheckILm5ElEESE_Lm5ESF_lEENS9_INSA_ISC_SD_Lm4ESF_lEESJ_SD_Lm5ESF_lEElllll ; -- Begin function _ZN2at6native12_GLOBAL__N_127reflection_pad3d_out_kernelIN3c107complexIdEEEEvN5torch10headeronly6detail27GenericPackedTensorAccessorINS8_14TensorAccessorINS3_8ArrayRefIlEEKT_Lm4ENS7_16DefaultPtrTraitsElEENS_6detail16IndexBoundsCheckILm5ElEESE_Lm5ESF_lEENS9_INSA_ISC_SD_Lm4ESF_lEESJ_SD_Lm5ESF_lEElllll
	.p2align	8
	.type	_ZN2at6native12_GLOBAL__N_127reflection_pad3d_out_kernelIN3c107complexIdEEEEvN5torch10headeronly6detail27GenericPackedTensorAccessorINS8_14TensorAccessorINS3_8ArrayRefIlEEKT_Lm4ENS7_16DefaultPtrTraitsElEENS_6detail16IndexBoundsCheckILm5ElEESE_Lm5ESF_lEENS9_INSA_ISC_SD_Lm4ESF_lEESJ_SD_Lm5ESF_lEElllll,@function
_ZN2at6native12_GLOBAL__N_127reflection_pad3d_out_kernelIN3c107complexIdEEEEvN5torch10headeronly6detail27GenericPackedTensorAccessorINS8_14TensorAccessorINS3_8ArrayRefIlEEKT_Lm4ENS7_16DefaultPtrTraitsElEENS_6detail16IndexBoundsCheckILm5ElEESE_Lm5ESF_lEENS9_INSA_ISC_SD_Lm4ESF_lEESJ_SD_Lm5ESF_lEElllll: ; @_ZN2at6native12_GLOBAL__N_127reflection_pad3d_out_kernelIN3c107complexIdEEEEvN5torch10headeronly6detail27GenericPackedTensorAccessorINS8_14TensorAccessorINS3_8ArrayRefIlEEKT_Lm4ENS7_16DefaultPtrTraitsElEENS_6detail16IndexBoundsCheckILm5ElEESE_Lm5ESF_lEENS9_INSA_ISC_SD_Lm4ESF_lEESJ_SD_Lm5ESF_lEElllll
; %bb.0:
	s_load_dword s5, s[0:1], 0xe4
	s_load_dwordx4 s[8:11], s[0:1], 0x70
	s_load_dwordx2 s[34:35], s[0:1], 0x80
	v_mov_b32_e32 v2, 0
	v_mov_b32_e32 v1, v2
	s_waitcnt lgkmcnt(0)
	s_and_b32 s5, s5, 0xffff
	v_mov_b32_e32 v3, s2
	v_mad_u64_u32 v[0:1], s[6:7], s5, v3, v[0:1]
	s_mul_i32 s2, s34, s11
	s_mul_hi_u32 s5, s34, s10
	s_add_i32 s5, s5, s2
	s_mul_i32 s2, s35, s10
	s_add_i32 s5, s5, s2
	s_mul_i32 s2, s34, s10
	s_mul_i32 s6, s2, s9
	s_mul_hi_u32 s7, s2, s8
	s_add_i32 s6, s7, s6
	s_mul_i32 s7, s5, s8
	s_add_i32 s7, s6, s7
	s_mul_i32 s6, s2, s8
	v_cmp_gt_i64_e32 vcc, s[6:7], v[0:1]
	s_and_saveexec_b64 s[6:7], vcc
	s_cbranch_execz .LBB64_14
; %bb.1:
	v_or_b32_e32 v3, s35, v1
	v_cmp_ne_u64_e32 vcc, 0, v[2:3]
	v_ashrrev_i32_e32 v4, 31, v1
                                        ; implicit-def: $vgpr6_vgpr7
	s_and_saveexec_b64 s[6:7], vcc
	s_xor_b64 s[8:9], exec, s[6:7]
	s_cbranch_execz .LBB64_3
; %bb.2:
	s_ashr_i32 s12, s35, 31
	s_add_u32 s6, s34, s12
	s_mov_b32 s13, s12
	s_addc_u32 s7, s35, s12
	s_xor_b64 s[14:15], s[6:7], s[12:13]
	v_cvt_f32_u32_e32 v2, s14
	v_cvt_f32_u32_e32 v3, s15
	s_sub_u32 s13, 0, s14
	s_subb_u32 s16, 0, s15
	v_mov_b32_e32 v5, v4
	v_fmamk_f32 v2, v3, 0x4f800000, v2
	v_rcp_f32_e32 v2, v2
	v_mov_b32_e32 v7, 0
	v_mul_f32_e32 v2, 0x5f7ffffc, v2
	v_mul_f32_e32 v3, 0x2f800000, v2
	v_trunc_f32_e32 v3, v3
	v_fmamk_f32 v2, v3, 0xcf800000, v2
	v_cvt_u32_f32_e32 v3, v3
	v_cvt_u32_f32_e32 v2, v2
	v_readfirstlane_b32 s17, v3
	v_readfirstlane_b32 s6, v2
	s_mul_i32 s7, s13, s17
	s_mul_hi_u32 s19, s13, s6
	s_mul_i32 s18, s16, s6
	s_add_i32 s7, s19, s7
	s_add_i32 s7, s7, s18
	s_mul_i32 s20, s13, s6
	s_mul_i32 s19, s6, s7
	s_mul_hi_u32 s21, s6, s20
	s_mul_hi_u32 s18, s6, s7
	s_add_u32 s19, s21, s19
	s_addc_u32 s18, 0, s18
	s_mul_hi_u32 s22, s17, s20
	s_mul_i32 s20, s17, s20
	s_add_u32 s19, s19, s20
	s_mul_hi_u32 s21, s17, s7
	s_addc_u32 s18, s18, s22
	s_addc_u32 s19, s21, 0
	s_mul_i32 s7, s17, s7
	s_add_u32 s7, s18, s7
	s_addc_u32 s18, 0, s19
	s_add_u32 s19, s6, s7
	s_cselect_b64 s[6:7], -1, 0
	s_cmp_lg_u64 s[6:7], 0
	s_addc_u32 s17, s17, s18
	s_mul_i32 s6, s13, s17
	s_mul_hi_u32 s7, s13, s19
	s_add_i32 s6, s7, s6
	s_mul_i32 s16, s16, s19
	s_add_i32 s6, s6, s16
	s_mul_i32 s13, s13, s19
	s_mul_hi_u32 s16, s17, s13
	s_mul_i32 s18, s17, s13
	s_mul_i32 s21, s19, s6
	s_mul_hi_u32 s13, s19, s13
	s_mul_hi_u32 s20, s19, s6
	s_add_u32 s13, s13, s21
	s_addc_u32 s20, 0, s20
	s_add_u32 s13, s13, s18
	s_mul_hi_u32 s7, s17, s6
	s_addc_u32 s13, s20, s16
	s_addc_u32 s7, s7, 0
	s_mul_i32 s6, s17, s6
	s_add_u32 s6, s13, s6
	s_addc_u32 s13, 0, s7
	s_add_u32 s16, s19, s6
	s_cselect_b64 s[6:7], -1, 0
	s_cmp_lg_u64 s[6:7], 0
	v_lshl_add_u64 v[2:3], v[0:1], 0, v[4:5]
	s_addc_u32 s13, s17, s13
	v_xor_b32_e32 v12, v2, v4
	v_xor_b32_e32 v5, v3, v4
	v_mad_u64_u32 v[2:3], s[6:7], v12, s13, 0
	v_mul_hi_u32 v6, v12, s16
	v_lshl_add_u64 v[2:3], v[6:7], 0, v[2:3]
	v_mad_u64_u32 v[10:11], s[6:7], v5, s16, 0
	v_add_co_u32_e32 v2, vcc, v2, v10
	v_mad_u64_u32 v[8:9], s[6:7], v5, s13, 0
	s_nop 0
	v_addc_co_u32_e32 v6, vcc, v3, v11, vcc
	s_nop 1
	v_addc_co_u32_e32 v9, vcc, 0, v9, vcc
	v_lshl_add_u64 v[2:3], v[6:7], 0, v[8:9]
	v_mul_lo_u32 v8, s15, v2
	v_mul_lo_u32 v9, s14, v3
	v_mad_u64_u32 v[6:7], s[6:7], s14, v2, 0
	v_add3_u32 v10, v7, v9, v8
	v_sub_u32_e32 v7, v5, v10
	v_mov_b32_e32 v8, s15
	v_sub_co_u32_e32 v11, vcc, v12, v6
	s_nop 1
	v_subb_co_u32_e64 v6, s[6:7], v7, v8, vcc
	v_subrev_co_u32_e64 v7, s[6:7], s14, v11
	v_subb_co_u32_e32 v5, vcc, v5, v10, vcc
	s_nop 0
	v_subbrev_co_u32_e64 v6, s[6:7], 0, v6, s[6:7]
	v_cmp_le_u32_e64 s[6:7], s15, v6
	v_cmp_le_u32_e32 vcc, s15, v5
	s_nop 0
	v_cndmask_b32_e64 v8, 0, -1, s[6:7]
	v_cmp_le_u32_e64 s[6:7], s14, v7
	s_nop 1
	v_cndmask_b32_e64 v7, 0, -1, s[6:7]
	v_cmp_eq_u32_e64 s[6:7], s15, v6
	s_nop 1
	v_cndmask_b32_e64 v12, v8, v7, s[6:7]
	v_lshl_add_u64 v[6:7], v[2:3], 0, 2
	v_lshl_add_u64 v[8:9], v[2:3], 0, 1
	v_cmp_ne_u32_e64 s[6:7], 0, v12
	s_nop 1
	v_cndmask_b32_e64 v7, v9, v7, s[6:7]
	v_cndmask_b32_e64 v9, 0, -1, vcc
	v_cmp_le_u32_e32 vcc, s14, v11
	s_nop 1
	v_cndmask_b32_e64 v10, 0, -1, vcc
	v_cmp_eq_u32_e32 vcc, s15, v5
	s_nop 1
	v_cndmask_b32_e32 v5, v9, v10, vcc
	v_cmp_ne_u32_e32 vcc, 0, v5
	v_cndmask_b32_e64 v5, v8, v6, s[6:7]
	s_nop 0
	v_cndmask_b32_e32 v2, v2, v5, vcc
	v_xor_b32_e32 v5, s12, v4
	v_cndmask_b32_e32 v3, v3, v7, vcc
	v_xor_b32_e32 v2, v2, v5
	v_xor_b32_e32 v3, v3, v5
	v_sub_co_u32_e32 v6, vcc, v2, v5
	s_nop 1
	v_subb_co_u32_e32 v7, vcc, v3, v5, vcc
.LBB64_3:
	s_andn2_saveexec_b64 s[6:7], s[8:9]
	s_cbranch_execz .LBB64_5
; %bb.4:
	v_cvt_f32_u32_e32 v2, s34
	s_sub_i32 s8, 0, s34
	v_mov_b32_e32 v7, 0
	v_rcp_iflag_f32_e32 v2, v2
	s_nop 0
	v_mul_f32_e32 v2, 0x4f7ffffe, v2
	v_cvt_u32_f32_e32 v2, v2
	v_mul_lo_u32 v3, s8, v2
	v_mul_hi_u32 v3, v2, v3
	v_add_u32_e32 v2, v2, v3
	v_mul_hi_u32 v2, v0, v2
	v_mul_lo_u32 v3, v2, s34
	v_sub_u32_e32 v3, v0, v3
	v_add_u32_e32 v5, 1, v2
	v_subrev_u32_e32 v6, s34, v3
	v_cmp_le_u32_e32 vcc, s34, v3
	s_nop 1
	v_cndmask_b32_e32 v3, v3, v6, vcc
	v_cndmask_b32_e32 v2, v2, v5, vcc
	v_add_u32_e32 v5, 1, v2
	v_cmp_le_u32_e32 vcc, s34, v3
	s_nop 1
	v_cndmask_b32_e32 v6, v2, v5, vcc
.LBB64_5:
	s_or_b64 exec, exec, s[6:7]
	v_or_b32_e32 v9, s11, v7
	v_mov_b32_e32 v8, 0
	v_cmp_ne_u64_e32 vcc, 0, v[8:9]
                                        ; implicit-def: $vgpr2_vgpr3
	s_and_saveexec_b64 s[6:7], vcc
	s_xor_b64 s[12:13], exec, s[6:7]
	s_cbranch_execz .LBB64_7
; %bb.6:
	s_ashr_i32 s6, s11, 31
	s_add_u32 s8, s10, s6
	s_mov_b32 s7, s6
	s_addc_u32 s9, s11, s6
	s_xor_b64 s[14:15], s[8:9], s[6:7]
	v_cvt_f32_u32_e32 v2, s14
	v_cvt_f32_u32_e32 v3, s15
	s_sub_u32 s8, 0, s14
	s_subb_u32 s9, 0, s15
	v_ashrrev_i32_e32 v10, 31, v7
	v_fmamk_f32 v2, v3, 0x4f800000, v2
	v_rcp_f32_e32 v2, v2
	v_mov_b32_e32 v11, v10
	v_mov_b32_e32 v13, v8
	v_mul_f32_e32 v2, 0x5f7ffffc, v2
	v_mul_f32_e32 v3, 0x2f800000, v2
	v_trunc_f32_e32 v3, v3
	v_fmamk_f32 v2, v3, 0xcf800000, v2
	v_cvt_u32_f32_e32 v3, v3
	v_cvt_u32_f32_e32 v2, v2
	v_readfirstlane_b32 s11, v3
	v_readfirstlane_b32 s6, v2
	s_mul_i32 s7, s8, s11
	s_mul_hi_u32 s17, s8, s6
	s_mul_i32 s16, s9, s6
	s_add_i32 s7, s17, s7
	s_add_i32 s7, s7, s16
	s_mul_i32 s18, s8, s6
	s_mul_i32 s17, s6, s7
	s_mul_hi_u32 s19, s6, s18
	s_mul_hi_u32 s16, s6, s7
	s_add_u32 s17, s19, s17
	s_addc_u32 s16, 0, s16
	s_mul_hi_u32 s20, s11, s18
	s_mul_i32 s18, s11, s18
	s_add_u32 s17, s17, s18
	s_mul_hi_u32 s19, s11, s7
	s_addc_u32 s16, s16, s20
	s_addc_u32 s17, s19, 0
	s_mul_i32 s7, s11, s7
	s_add_u32 s7, s16, s7
	s_addc_u32 s16, 0, s17
	s_add_u32 s17, s6, s7
	s_cselect_b64 s[6:7], -1, 0
	s_cmp_lg_u64 s[6:7], 0
	s_addc_u32 s11, s11, s16
	s_mul_i32 s6, s8, s11
	s_mul_hi_u32 s7, s8, s17
	s_add_i32 s6, s7, s6
	s_mul_i32 s9, s9, s17
	s_add_i32 s6, s6, s9
	s_mul_i32 s8, s8, s17
	s_mul_hi_u32 s9, s11, s8
	s_mul_i32 s16, s11, s8
	s_mul_i32 s19, s17, s6
	s_mul_hi_u32 s8, s17, s8
	s_mul_hi_u32 s18, s17, s6
	s_add_u32 s8, s8, s19
	s_addc_u32 s18, 0, s18
	s_add_u32 s8, s8, s16
	s_mul_hi_u32 s7, s11, s6
	s_addc_u32 s8, s18, s9
	s_addc_u32 s7, s7, 0
	s_mul_i32 s6, s11, s6
	s_add_u32 s6, s8, s6
	s_addc_u32 s8, 0, s7
	s_add_u32 s9, s17, s6
	s_cselect_b64 s[6:7], -1, 0
	s_cmp_lg_u64 s[6:7], 0
	v_lshl_add_u64 v[2:3], v[6:7], 0, v[10:11]
	s_addc_u32 s8, s11, s8
	v_xor_b32_e32 v9, v2, v10
	v_xor_b32_e32 v5, v3, v10
	v_mad_u64_u32 v[2:3], s[6:7], v9, s8, 0
	v_mul_hi_u32 v12, v9, s9
	v_lshl_add_u64 v[2:3], v[12:13], 0, v[2:3]
	v_mad_u64_u32 v[14:15], s[6:7], v5, s9, 0
	v_add_co_u32_e32 v2, vcc, v2, v14
	v_mad_u64_u32 v[12:13], s[6:7], v5, s8, 0
	s_nop 0
	v_addc_co_u32_e32 v2, vcc, v3, v15, vcc
	v_mov_b32_e32 v3, v8
	s_nop 0
	v_addc_co_u32_e32 v13, vcc, 0, v13, vcc
	v_lshl_add_u64 v[2:3], v[2:3], 0, v[12:13]
	v_mul_lo_u32 v8, s15, v2
	v_mul_lo_u32 v11, s14, v3
	v_mad_u64_u32 v[2:3], s[6:7], s14, v2, 0
	v_add3_u32 v3, v3, v11, v8
	v_sub_u32_e32 v8, v5, v3
	v_mov_b32_e32 v11, s15
	v_sub_co_u32_e32 v2, vcc, v9, v2
	s_nop 1
	v_subb_co_u32_e64 v8, s[6:7], v8, v11, vcc
	v_subrev_co_u32_e64 v9, s[6:7], s14, v2
	v_subb_co_u32_e32 v3, vcc, v5, v3, vcc
	s_nop 0
	v_subbrev_co_u32_e64 v12, s[8:9], 0, v8, s[6:7]
	v_cmp_le_u32_e64 s[8:9], s15, v12
	v_subb_co_u32_e64 v8, s[6:7], v8, v11, s[6:7]
	s_nop 0
	v_cndmask_b32_e64 v13, 0, -1, s[8:9]
	v_cmp_le_u32_e64 s[8:9], s14, v9
	v_subrev_co_u32_e64 v11, s[6:7], s14, v9
	s_nop 0
	v_cndmask_b32_e64 v14, 0, -1, s[8:9]
	v_cmp_eq_u32_e64 s[8:9], s15, v12
	v_subbrev_co_u32_e64 v8, s[6:7], 0, v8, s[6:7]
	s_nop 0
	v_cndmask_b32_e64 v13, v13, v14, s[8:9]
	v_cmp_le_u32_e32 vcc, s15, v3
	v_cmp_ne_u32_e64 s[6:7], 0, v13
	s_nop 0
	v_cndmask_b32_e64 v5, 0, -1, vcc
	v_cmp_le_u32_e32 vcc, s14, v2
	v_cndmask_b32_e64 v8, v12, v8, s[6:7]
	s_nop 0
	v_cndmask_b32_e64 v12, 0, -1, vcc
	v_cmp_eq_u32_e32 vcc, s15, v3
	s_nop 1
	v_cndmask_b32_e32 v5, v5, v12, vcc
	v_cmp_ne_u32_e32 vcc, 0, v5
	v_cndmask_b32_e64 v5, v9, v11, s[6:7]
	s_nop 0
	v_cndmask_b32_e32 v2, v2, v5, vcc
	v_cndmask_b32_e32 v3, v3, v8, vcc
	v_xor_b32_e32 v2, v2, v10
	v_xor_b32_e32 v3, v3, v10
	v_sub_co_u32_e32 v2, vcc, v2, v10
	s_nop 1
	v_subb_co_u32_e32 v3, vcc, v3, v10, vcc
.LBB64_7:
	s_or_saveexec_b64 s[6:7], s[12:13]
	s_load_dwordx2 s[44:45], s[0:1], 0xa8
	s_load_dwordx8 s[24:31], s[0:1], 0x88
	s_xor_b64 exec, exec, s[6:7]
	s_cbranch_execz .LBB64_9
; %bb.8:
	v_cvt_f32_u32_e32 v2, s10
	s_sub_i32 s8, 0, s10
	v_rcp_iflag_f32_e32 v2, v2
	s_nop 0
	v_mul_f32_e32 v2, 0x4f7ffffe, v2
	v_cvt_u32_f32_e32 v2, v2
	v_mul_lo_u32 v3, s8, v2
	v_mul_hi_u32 v3, v2, v3
	v_add_u32_e32 v2, v2, v3
	v_mul_hi_u32 v2, v6, v2
	v_mul_lo_u32 v2, v2, s10
	v_sub_u32_e32 v2, v6, v2
	v_subrev_u32_e32 v3, s10, v2
	v_cmp_le_u32_e32 vcc, s10, v2
	s_nop 1
	v_cndmask_b32_e32 v2, v2, v3, vcc
	v_subrev_u32_e32 v3, s10, v2
	v_cmp_le_u32_e32 vcc, s10, v2
	s_nop 1
	v_cndmask_b32_e32 v2, v2, v3, vcc
	v_mov_b32_e32 v3, 0
.LBB64_9:
	s_or_b64 exec, exec, s[6:7]
	s_load_dwordx2 s[46:47], s[0:1], 0x58
	s_load_dwordx2 s[48:49], s[0:1], 0x0
	v_or_b32_e32 v11, s5, v1
	v_mov_b32_e32 v10, 0
	v_cmp_ne_u64_e32 vcc, 0, v[10:11]
                                        ; implicit-def: $vgpr8_vgpr9
	s_and_saveexec_b64 s[6:7], vcc
	s_xor_b64 s[8:9], exec, s[6:7]
	s_cbranch_execz .LBB64_11
; %bb.10:
	s_ashr_i32 s10, s5, 31
	s_add_u32 s6, s2, s10
	s_mov_b32 s11, s10
	s_addc_u32 s7, s5, s10
	s_xor_b64 s[12:13], s[6:7], s[10:11]
	v_cvt_f32_u32_e32 v5, s12
	v_cvt_f32_u32_e32 v8, s13
	s_sub_u32 s5, 0, s12
	s_subb_u32 s11, 0, s13
	v_mov_b32_e32 v13, v10
	v_fmamk_f32 v5, v8, 0x4f800000, v5
	v_rcp_f32_e32 v5, v5
	s_nop 0
	v_mul_f32_e32 v5, 0x5f7ffffc, v5
	v_mul_f32_e32 v8, 0x2f800000, v5
	v_trunc_f32_e32 v8, v8
	v_fmamk_f32 v5, v8, 0xcf800000, v5
	v_cvt_u32_f32_e32 v8, v8
	v_cvt_u32_f32_e32 v5, v5
	v_readfirstlane_b32 s14, v8
	v_readfirstlane_b32 s6, v5
	s_mul_i32 s7, s5, s14
	s_mul_hi_u32 s16, s5, s6
	s_mul_i32 s15, s11, s6
	s_add_i32 s7, s16, s7
	s_add_i32 s7, s7, s15
	s_mul_i32 s17, s5, s6
	s_mul_i32 s16, s6, s7
	s_mul_hi_u32 s18, s6, s17
	s_mul_hi_u32 s15, s6, s7
	s_add_u32 s16, s18, s16
	s_addc_u32 s15, 0, s15
	s_mul_hi_u32 s19, s14, s17
	s_mul_i32 s17, s14, s17
	s_add_u32 s16, s16, s17
	s_mul_hi_u32 s18, s14, s7
	s_addc_u32 s15, s15, s19
	s_addc_u32 s16, s18, 0
	s_mul_i32 s7, s14, s7
	s_add_u32 s7, s15, s7
	s_addc_u32 s15, 0, s16
	s_add_u32 s16, s6, s7
	s_cselect_b64 s[6:7], -1, 0
	s_cmp_lg_u64 s[6:7], 0
	s_addc_u32 s14, s14, s15
	s_mul_i32 s6, s5, s14
	s_mul_hi_u32 s7, s5, s16
	s_add_i32 s6, s7, s6
	s_mul_i32 s11, s11, s16
	s_add_i32 s6, s6, s11
	s_mul_i32 s5, s5, s16
	s_mul_hi_u32 s11, s14, s5
	s_mul_i32 s15, s14, s5
	s_mul_i32 s18, s16, s6
	s_mul_hi_u32 s5, s16, s5
	s_mul_hi_u32 s17, s16, s6
	s_add_u32 s5, s5, s18
	s_addc_u32 s17, 0, s17
	s_add_u32 s5, s5, s15
	s_mul_hi_u32 s7, s14, s6
	s_addc_u32 s5, s17, s11
	s_addc_u32 s7, s7, 0
	s_mul_i32 s6, s14, s6
	s_add_u32 s5, s5, s6
	s_addc_u32 s11, 0, s7
	s_add_u32 s5, s16, s5
	s_cselect_b64 s[6:7], -1, 0
	v_mov_b32_e32 v5, v4
	s_cmp_lg_u64 s[6:7], 0
	v_lshl_add_u64 v[8:9], v[0:1], 0, v[4:5]
	s_addc_u32 s11, s14, s11
	v_xor_b32_e32 v16, v8, v4
	v_xor_b32_e32 v5, v9, v4
	v_mad_u64_u32 v[8:9], s[6:7], v16, s11, 0
	v_mul_hi_u32 v12, v16, s5
	v_lshl_add_u64 v[8:9], v[12:13], 0, v[8:9]
	v_mad_u64_u32 v[14:15], s[6:7], v5, s5, 0
	v_add_co_u32_e32 v8, vcc, v8, v14
	v_mad_u64_u32 v[12:13], s[6:7], v5, s11, 0
	s_nop 0
	v_addc_co_u32_e32 v8, vcc, v9, v15, vcc
	v_mov_b32_e32 v9, v10
	s_nop 0
	v_addc_co_u32_e32 v13, vcc, 0, v13, vcc
	v_lshl_add_u64 v[8:9], v[8:9], 0, v[12:13]
	v_mul_lo_u32 v12, s13, v8
	v_mul_lo_u32 v13, s12, v9
	v_mad_u64_u32 v[10:11], s[6:7], s12, v8, 0
	v_add3_u32 v14, v11, v13, v12
	v_sub_u32_e32 v11, v5, v14
	v_mov_b32_e32 v12, s13
	v_sub_co_u32_e32 v15, vcc, v16, v10
	v_xor_b32_e32 v4, s10, v4
	s_nop 0
	v_subb_co_u32_e64 v10, s[6:7], v11, v12, vcc
	v_subrev_co_u32_e64 v11, s[6:7], s12, v15
	v_subb_co_u32_e32 v5, vcc, v5, v14, vcc
	s_nop 0
	v_subbrev_co_u32_e64 v10, s[6:7], 0, v10, s[6:7]
	v_cmp_le_u32_e64 s[6:7], s13, v10
	v_cmp_le_u32_e32 vcc, s13, v5
	s_nop 0
	v_cndmask_b32_e64 v12, 0, -1, s[6:7]
	v_cmp_le_u32_e64 s[6:7], s12, v11
	s_nop 1
	v_cndmask_b32_e64 v11, 0, -1, s[6:7]
	v_cmp_eq_u32_e64 s[6:7], s13, v10
	s_nop 1
	v_cndmask_b32_e64 v16, v12, v11, s[6:7]
	v_lshl_add_u64 v[10:11], v[8:9], 0, 2
	v_lshl_add_u64 v[12:13], v[8:9], 0, 1
	v_cmp_ne_u32_e64 s[6:7], 0, v16
	s_nop 1
	v_cndmask_b32_e64 v11, v13, v11, s[6:7]
	v_cndmask_b32_e64 v13, 0, -1, vcc
	v_cmp_le_u32_e32 vcc, s12, v15
	s_nop 1
	v_cndmask_b32_e64 v14, 0, -1, vcc
	v_cmp_eq_u32_e32 vcc, s13, v5
	s_nop 1
	v_cndmask_b32_e32 v5, v13, v14, vcc
	v_cmp_ne_u32_e32 vcc, 0, v5
	s_nop 1
	v_cndmask_b32_e32 v5, v9, v11, vcc
	v_cndmask_b32_e64 v9, v12, v10, s[6:7]
	v_cndmask_b32_e32 v8, v8, v9, vcc
	v_xor_b32_e32 v8, v8, v4
	v_xor_b32_e32 v5, v5, v4
	v_sub_co_u32_e32 v8, vcc, v8, v4
	s_nop 1
	v_subb_co_u32_e32 v9, vcc, v5, v4, vcc
.LBB64_11:
	s_or_saveexec_b64 s[6:7], s[8:9]
	s_load_dwordx16 s[8:23], s[0:1], 0x18
	s_xor_b64 exec, exec, s[6:7]
	s_cbranch_execz .LBB64_13
; %bb.12:
	v_cvt_f32_u32_e32 v4, s2
	s_sub_i32 s5, 0, s2
	v_rcp_iflag_f32_e32 v4, v4
	s_nop 0
	v_mul_f32_e32 v4, 0x4f7ffffe, v4
	v_cvt_u32_f32_e32 v4, v4
	v_mul_lo_u32 v5, s5, v4
	v_mul_hi_u32 v5, v4, v5
	v_add_u32_e32 v4, v4, v5
	v_mul_hi_u32 v4, v0, v4
	v_mul_lo_u32 v5, v4, s2
	v_sub_u32_e32 v5, v0, v5
	v_add_u32_e32 v8, 1, v4
	v_subrev_u32_e32 v9, s2, v5
	v_cmp_le_u32_e32 vcc, s2, v5
	s_nop 1
	v_cndmask_b32_e32 v5, v5, v9, vcc
	v_cndmask_b32_e32 v4, v4, v8, vcc
	v_add_u32_e32 v8, 1, v4
	v_cmp_le_u32_e32 vcc, s2, v5
	v_mov_b32_e32 v9, 0
	s_nop 0
	v_cndmask_b32_e32 v8, v4, v8, vcc
.LBB64_13:
	s_or_b64 exec, exec, s[6:7]
	s_load_dwordx8 s[36:43], s[0:1], 0xb0
	v_mad_u64_u32 v[4:5], s[6:7], v6, s34, 0
	v_mul_lo_u32 v7, v7, s34
	v_mul_lo_u32 v10, v6, s35
	s_waitcnt lgkmcnt(0)
	s_sub_u32 s6, 0, s36
	s_subb_u32 s7, 0, s37
	s_sub_u32 s34, 0, s38
	s_subb_u32 s35, 0, s39
	;; [unrolled: 2-line block ×3, first 2 shown]
	v_cmp_gt_i64_e64 s[52:53], s[6:7], 0
	s_and_b64 s[52:53], s[52:53], exec
	s_cselect_b32 s2, s7, 0
	s_cselect_b32 s5, s6, 0
	v_cmp_gt_i64_e64 s[6:7], s[36:37], 0
	s_and_b64 s[6:7], s[6:7], exec
	v_cmp_gt_i64_e64 s[6:7], s[34:35], 0
	s_cselect_b32 s53, s37, 0
	s_cselect_b32 s52, s36, 0
	s_and_b64 s[6:7], s[6:7], exec
	v_add3_u32 v5, v5, v10, v7
	v_sub_co_u32_e32 v0, vcc, v0, v4
	v_cmp_gt_i64_e64 s[6:7], s[38:39], 0
	s_nop 0
	v_subb_co_u32_e32 v1, vcc, v1, v5, vcc
	s_cselect_b32 s33, s35, 0
	s_cselect_b32 s54, s34, 0
	s_and_b64 s[6:7], s[6:7], exec
	v_cmp_gt_i64_e64 s[6:7], s[50:51], 0
	v_mov_b32_e32 v4, s37
	v_subrev_co_u32_e32 v5, vcc, s36, v0
	s_cselect_b32 s35, s39, 0
	s_cselect_b32 s34, s38, 0
	s_and_b64 s[6:7], s[6:7], exec
	v_subb_co_u32_e32 v4, vcc, v1, v4, vcc
	v_cmp_gt_i64_e64 s[6:7], s[40:41], 0
	v_ashrrev_i32_e32 v6, 31, v4
	s_cselect_b32 s55, s51, 0
	s_cselect_b32 s56, s50, 0
	s_and_b64 s[6:7], s[6:7], exec
	v_xor_b32_e32 v7, v4, v6
	v_xor_b32_e32 v4, v5, v6
	s_cselect_b32 s7, s41, 0
	s_cselect_b32 s6, s40, 0
	v_sub_co_u32_e32 v4, vcc, v4, v6
	s_add_u32 s50, s36, s12
	s_nop 0
	v_subb_co_u32_e32 v5, vcc, v7, v6, vcc
	s_addc_u32 s51, s37, s13
	v_mov_b32_e32 v7, s51
	v_subrev_co_u32_e32 v6, vcc, s50, v0
	s_lshl_b64 s[36:37], s[36:37], 1
	s_nop 0
	v_subb_co_u32_e32 v7, vcc, v1, v7, vcc
	s_not_b64 s[50:51], s[52:53]
	v_lshl_add_u64 v[6:7], v[6:7], 0, 1
	s_add_u32 s36, s36, s50
	v_ashrrev_i32_e32 v10, 31, v7
	s_addc_u32 s37, s37, s51
	v_xor_b32_e32 v6, v6, v10
	s_add_u32 s5, s36, s5
	v_xor_b32_e32 v7, v7, v10
	v_sub_co_u32_e32 v6, vcc, v6, v10
	s_addc_u32 s2, s37, s2
	s_nop 0
	v_subb_co_u32_e32 v7, vcc, v7, v10, vcc
	s_add_u32 s5, s5, s12
	s_addc_u32 s2, s2, s13
	v_lshl_add_u64 v[6:7], v[0:1], 0, v[6:7]
	v_mov_b32_e32 v10, s2
	v_sub_co_u32_e32 v6, vcc, s5, v6
	s_add_u32 s2, s38, s10
	s_nop 0
	v_subb_co_u32_e32 v7, vcc, v10, v7, vcc
	v_lshl_add_u64 v[4:5], v[6:7], 0, v[4:5]
	v_mov_b32_e32 v6, s39
	v_subrev_co_u32_e32 v7, vcc, s38, v2
	s_addc_u32 s5, s39, s11
	s_nop 0
	v_subb_co_u32_e32 v6, vcc, v3, v6, vcc
	v_ashrrev_i32_e32 v10, 31, v6
	v_xor_b32_e32 v11, v6, v10
	v_xor_b32_e32 v6, v7, v10
	v_sub_co_u32_e32 v6, vcc, v6, v10
	s_lshl_b64 s[12:13], s[38:39], 1
	s_nop 0
	v_subb_co_u32_e32 v7, vcc, v11, v10, vcc
	v_mov_b32_e32 v11, s5
	v_subrev_co_u32_e32 v10, vcc, s2, v2
	s_not_b64 s[34:35], s[34:35]
	s_nop 0
	v_subb_co_u32_e32 v11, vcc, v3, v11, vcc
	v_lshl_add_u64 v[10:11], v[10:11], 0, 1
	s_add_u32 s2, s12, s34
	v_ashrrev_i32_e32 v12, 31, v11
	s_addc_u32 s5, s13, s35
	v_xor_b32_e32 v10, v10, v12
	s_add_u32 s2, s2, s54
	v_xor_b32_e32 v11, v11, v12
	v_sub_co_u32_e32 v10, vcc, v10, v12
	s_addc_u32 s5, s5, s33
	s_nop 0
	v_subb_co_u32_e32 v11, vcc, v11, v12, vcc
	s_add_u32 s2, s2, s10
	s_addc_u32 s5, s5, s11
	v_lshl_add_u64 v[10:11], v[2:3], 0, v[10:11]
	v_mov_b32_e32 v12, s5
	v_sub_co_u32_e32 v10, vcc, s2, v10
	s_add_u32 s2, s40, s8
	s_nop 0
	v_subb_co_u32_e32 v11, vcc, v12, v11, vcc
	v_lshl_add_u64 v[6:7], v[10:11], 0, v[6:7]
	v_mov_b32_e32 v10, s41
	v_subrev_co_u32_e32 v11, vcc, s40, v8
	s_addc_u32 s5, s41, s9
	s_nop 0
	v_subb_co_u32_e32 v10, vcc, v9, v10, vcc
	v_ashrrev_i32_e32 v12, 31, v10
	v_xor_b32_e32 v13, v10, v12
	v_xor_b32_e32 v10, v11, v12
	v_sub_co_u32_e32 v10, vcc, v10, v12
	s_lshl_b64 s[10:11], s[40:41], 1
	s_nop 0
	v_subb_co_u32_e32 v11, vcc, v13, v12, vcc
	s_not_b64 s[6:7], s[6:7]
	v_mov_b32_e32 v13, s5
	v_subrev_co_u32_e32 v12, vcc, s2, v8
	s_add_u32 s2, s10, s6
	s_nop 0
	v_subb_co_u32_e32 v13, vcc, v9, v13, vcc
	s_addc_u32 s5, s11, s7
	v_lshl_add_u64 v[12:13], v[12:13], 0, 1
	s_add_u32 s2, s2, s56
	s_load_dwordx2 s[0:1], s[0:1], 0xd0
	v_ashrrev_i32_e32 v14, 31, v13
	s_addc_u32 s5, s5, s55
	v_xor_b32_e32 v12, v12, v14
	s_add_u32 s2, s2, s8
	v_xor_b32_e32 v13, v13, v14
	v_sub_co_u32_e32 v12, vcc, v12, v14
	s_addc_u32 s5, s5, s9
	s_nop 0
	v_subb_co_u32_e32 v13, vcc, v13, v14, vcc
	v_mov_b32_e32 v14, s5
	s_add_u32 s5, s42, s3
	s_addc_u32 s6, s43, 0
	s_waitcnt lgkmcnt(0)
	s_add_u32 s4, s0, s4
	s_addc_u32 s7, s1, 0
	s_mul_i32 s0, s14, s7
	s_mul_hi_u32 s1, s14, s4
	s_add_i32 s0, s1, s0
	s_mul_i32 s1, s15, s4
	s_add_i32 s1, s0, s1
	s_mul_i32 s0, s14, s4
	v_lshl_add_u64 v[12:13], v[8:9], 0, v[12:13]
	s_lshl_b64 s[0:1], s[0:1], 4
	v_sub_co_u32_e32 v12, vcc, s2, v12
	s_add_u32 s2, s48, s0
	s_addc_u32 s3, s49, s1
	s_mul_i32 s0, s16, s6
	s_mul_hi_u32 s1, s16, s5
	s_add_i32 s0, s1, s0
	s_mul_i32 s1, s17, s5
	s_add_i32 s1, s0, s1
	s_mul_i32 s0, s16, s5
	v_subb_co_u32_e32 v13, vcc, v14, v13, vcc
	s_lshl_b64 s[0:1], s[0:1], 4
	v_lshl_add_u64 v[10:11], v[12:13], 0, v[10:11]
	s_add_u32 s0, s2, s0
	s_addc_u32 s1, s3, s1
	v_mul_lo_u32 v12, v11, s18
	v_mul_lo_u32 v13, v10, s19
	v_mad_u64_u32 v[10:11], s[2:3], v10, s18, 0
	v_add3_u32 v11, v11, v13, v12
	v_lshl_add_u64 v[10:11], v[10:11], 4, s[0:1]
	v_mul_lo_u32 v12, v7, s20
	v_mul_lo_u32 v13, v6, s21
	v_mad_u64_u32 v[6:7], s[0:1], v6, s20, 0
	v_add3_u32 v7, v7, v13, v12
	v_lshl_add_u64 v[6:7], v[6:7], 4, v[10:11]
	;; [unrolled: 5-line block ×3, first 2 shown]
	global_load_dwordx4 v[4:7], v[4:5], off
	s_mul_i32 s0, s24, s7
	s_mul_hi_u32 s1, s24, s4
	s_add_i32 s0, s1, s0
	s_mul_i32 s1, s25, s4
	s_add_i32 s1, s0, s1
	s_mul_i32 s0, s24, s4
	s_lshl_b64 s[0:1], s[0:1], 4
	s_add_u32 s2, s46, s0
	s_addc_u32 s3, s47, s1
	s_mul_i32 s0, s26, s6
	s_mul_hi_u32 s1, s26, s5
	s_add_i32 s0, s1, s0
	s_mul_i32 s1, s27, s5
	s_add_i32 s1, s0, s1
	s_mul_i32 s0, s26, s5
	s_lshl_b64 s[0:1], s[0:1], 4
	s_add_u32 s0, s2, s0
	s_addc_u32 s1, s3, s1
	v_mul_lo_u32 v10, v9, s28
	v_mul_lo_u32 v11, v8, s29
	v_mad_u64_u32 v[8:9], s[2:3], v8, s28, 0
	v_add3_u32 v9, v9, v11, v10
	v_lshl_add_u64 v[8:9], v[8:9], 4, s[0:1]
	v_mul_lo_u32 v10, v3, s30
	v_mul_lo_u32 v11, v2, s31
	v_mad_u64_u32 v[2:3], s[0:1], v2, s30, 0
	v_add3_u32 v3, v3, v11, v10
	v_lshl_add_u64 v[2:3], v[2:3], 4, v[8:9]
	;; [unrolled: 5-line block ×3, first 2 shown]
	s_waitcnt vmcnt(0)
	global_store_dwordx4 v[0:1], v[4:7], off
.LBB64_14:
	s_endpgm
	.section	.rodata,"a",@progbits
	.p2align	6, 0x0
	.amdhsa_kernel _ZN2at6native12_GLOBAL__N_127reflection_pad3d_out_kernelIN3c107complexIdEEEEvN5torch10headeronly6detail27GenericPackedTensorAccessorINS8_14TensorAccessorINS3_8ArrayRefIlEEKT_Lm4ENS7_16DefaultPtrTraitsElEENS_6detail16IndexBoundsCheckILm5ElEESE_Lm5ESF_lEENS9_INSA_ISC_SD_Lm4ESF_lEESJ_SD_Lm5ESF_lEElllll
		.amdhsa_group_segment_fixed_size 0
		.amdhsa_private_segment_fixed_size 0
		.amdhsa_kernarg_size 472
		.amdhsa_user_sgpr_count 2
		.amdhsa_user_sgpr_dispatch_ptr 0
		.amdhsa_user_sgpr_queue_ptr 0
		.amdhsa_user_sgpr_kernarg_segment_ptr 1
		.amdhsa_user_sgpr_dispatch_id 0
		.amdhsa_user_sgpr_kernarg_preload_length 0
		.amdhsa_user_sgpr_kernarg_preload_offset 0
		.amdhsa_user_sgpr_private_segment_size 0
		.amdhsa_uses_dynamic_stack 0
		.amdhsa_enable_private_segment 0
		.amdhsa_system_sgpr_workgroup_id_x 1
		.amdhsa_system_sgpr_workgroup_id_y 1
		.amdhsa_system_sgpr_workgroup_id_z 1
		.amdhsa_system_sgpr_workgroup_info 0
		.amdhsa_system_vgpr_workitem_id 0
		.amdhsa_next_free_vgpr 17
		.amdhsa_next_free_sgpr 57
		.amdhsa_accum_offset 20
		.amdhsa_reserve_vcc 1
		.amdhsa_float_round_mode_32 0
		.amdhsa_float_round_mode_16_64 0
		.amdhsa_float_denorm_mode_32 3
		.amdhsa_float_denorm_mode_16_64 3
		.amdhsa_dx10_clamp 1
		.amdhsa_ieee_mode 1
		.amdhsa_fp16_overflow 0
		.amdhsa_tg_split 0
		.amdhsa_exception_fp_ieee_invalid_op 0
		.amdhsa_exception_fp_denorm_src 0
		.amdhsa_exception_fp_ieee_div_zero 0
		.amdhsa_exception_fp_ieee_overflow 0
		.amdhsa_exception_fp_ieee_underflow 0
		.amdhsa_exception_fp_ieee_inexact 0
		.amdhsa_exception_int_div_zero 0
	.end_amdhsa_kernel
	.section	.text._ZN2at6native12_GLOBAL__N_127reflection_pad3d_out_kernelIN3c107complexIdEEEEvN5torch10headeronly6detail27GenericPackedTensorAccessorINS8_14TensorAccessorINS3_8ArrayRefIlEEKT_Lm4ENS7_16DefaultPtrTraitsElEENS_6detail16IndexBoundsCheckILm5ElEESE_Lm5ESF_lEENS9_INSA_ISC_SD_Lm4ESF_lEESJ_SD_Lm5ESF_lEElllll,"axG",@progbits,_ZN2at6native12_GLOBAL__N_127reflection_pad3d_out_kernelIN3c107complexIdEEEEvN5torch10headeronly6detail27GenericPackedTensorAccessorINS8_14TensorAccessorINS3_8ArrayRefIlEEKT_Lm4ENS7_16DefaultPtrTraitsElEENS_6detail16IndexBoundsCheckILm5ElEESE_Lm5ESF_lEENS9_INSA_ISC_SD_Lm4ESF_lEESJ_SD_Lm5ESF_lEElllll,comdat
.Lfunc_end64:
	.size	_ZN2at6native12_GLOBAL__N_127reflection_pad3d_out_kernelIN3c107complexIdEEEEvN5torch10headeronly6detail27GenericPackedTensorAccessorINS8_14TensorAccessorINS3_8ArrayRefIlEEKT_Lm4ENS7_16DefaultPtrTraitsElEENS_6detail16IndexBoundsCheckILm5ElEESE_Lm5ESF_lEENS9_INSA_ISC_SD_Lm4ESF_lEESJ_SD_Lm5ESF_lEElllll, .Lfunc_end64-_ZN2at6native12_GLOBAL__N_127reflection_pad3d_out_kernelIN3c107complexIdEEEEvN5torch10headeronly6detail27GenericPackedTensorAccessorINS8_14TensorAccessorINS3_8ArrayRefIlEEKT_Lm4ENS7_16DefaultPtrTraitsElEENS_6detail16IndexBoundsCheckILm5ElEESE_Lm5ESF_lEENS9_INSA_ISC_SD_Lm4ESF_lEESJ_SD_Lm5ESF_lEElllll
                                        ; -- End function
	.set _ZN2at6native12_GLOBAL__N_127reflection_pad3d_out_kernelIN3c107complexIdEEEEvN5torch10headeronly6detail27GenericPackedTensorAccessorINS8_14TensorAccessorINS3_8ArrayRefIlEEKT_Lm4ENS7_16DefaultPtrTraitsElEENS_6detail16IndexBoundsCheckILm5ElEESE_Lm5ESF_lEENS9_INSA_ISC_SD_Lm4ESF_lEESJ_SD_Lm5ESF_lEElllll.num_vgpr, 17
	.set _ZN2at6native12_GLOBAL__N_127reflection_pad3d_out_kernelIN3c107complexIdEEEEvN5torch10headeronly6detail27GenericPackedTensorAccessorINS8_14TensorAccessorINS3_8ArrayRefIlEEKT_Lm4ENS7_16DefaultPtrTraitsElEENS_6detail16IndexBoundsCheckILm5ElEESE_Lm5ESF_lEENS9_INSA_ISC_SD_Lm4ESF_lEESJ_SD_Lm5ESF_lEElllll.num_agpr, 0
	.set _ZN2at6native12_GLOBAL__N_127reflection_pad3d_out_kernelIN3c107complexIdEEEEvN5torch10headeronly6detail27GenericPackedTensorAccessorINS8_14TensorAccessorINS3_8ArrayRefIlEEKT_Lm4ENS7_16DefaultPtrTraitsElEENS_6detail16IndexBoundsCheckILm5ElEESE_Lm5ESF_lEENS9_INSA_ISC_SD_Lm4ESF_lEESJ_SD_Lm5ESF_lEElllll.numbered_sgpr, 57
	.set _ZN2at6native12_GLOBAL__N_127reflection_pad3d_out_kernelIN3c107complexIdEEEEvN5torch10headeronly6detail27GenericPackedTensorAccessorINS8_14TensorAccessorINS3_8ArrayRefIlEEKT_Lm4ENS7_16DefaultPtrTraitsElEENS_6detail16IndexBoundsCheckILm5ElEESE_Lm5ESF_lEENS9_INSA_ISC_SD_Lm4ESF_lEESJ_SD_Lm5ESF_lEElllll.num_named_barrier, 0
	.set _ZN2at6native12_GLOBAL__N_127reflection_pad3d_out_kernelIN3c107complexIdEEEEvN5torch10headeronly6detail27GenericPackedTensorAccessorINS8_14TensorAccessorINS3_8ArrayRefIlEEKT_Lm4ENS7_16DefaultPtrTraitsElEENS_6detail16IndexBoundsCheckILm5ElEESE_Lm5ESF_lEENS9_INSA_ISC_SD_Lm4ESF_lEESJ_SD_Lm5ESF_lEElllll.private_seg_size, 0
	.set _ZN2at6native12_GLOBAL__N_127reflection_pad3d_out_kernelIN3c107complexIdEEEEvN5torch10headeronly6detail27GenericPackedTensorAccessorINS8_14TensorAccessorINS3_8ArrayRefIlEEKT_Lm4ENS7_16DefaultPtrTraitsElEENS_6detail16IndexBoundsCheckILm5ElEESE_Lm5ESF_lEENS9_INSA_ISC_SD_Lm4ESF_lEESJ_SD_Lm5ESF_lEElllll.uses_vcc, 1
	.set _ZN2at6native12_GLOBAL__N_127reflection_pad3d_out_kernelIN3c107complexIdEEEEvN5torch10headeronly6detail27GenericPackedTensorAccessorINS8_14TensorAccessorINS3_8ArrayRefIlEEKT_Lm4ENS7_16DefaultPtrTraitsElEENS_6detail16IndexBoundsCheckILm5ElEESE_Lm5ESF_lEENS9_INSA_ISC_SD_Lm4ESF_lEESJ_SD_Lm5ESF_lEElllll.uses_flat_scratch, 0
	.set _ZN2at6native12_GLOBAL__N_127reflection_pad3d_out_kernelIN3c107complexIdEEEEvN5torch10headeronly6detail27GenericPackedTensorAccessorINS8_14TensorAccessorINS3_8ArrayRefIlEEKT_Lm4ENS7_16DefaultPtrTraitsElEENS_6detail16IndexBoundsCheckILm5ElEESE_Lm5ESF_lEENS9_INSA_ISC_SD_Lm4ESF_lEESJ_SD_Lm5ESF_lEElllll.has_dyn_sized_stack, 0
	.set _ZN2at6native12_GLOBAL__N_127reflection_pad3d_out_kernelIN3c107complexIdEEEEvN5torch10headeronly6detail27GenericPackedTensorAccessorINS8_14TensorAccessorINS3_8ArrayRefIlEEKT_Lm4ENS7_16DefaultPtrTraitsElEENS_6detail16IndexBoundsCheckILm5ElEESE_Lm5ESF_lEENS9_INSA_ISC_SD_Lm4ESF_lEESJ_SD_Lm5ESF_lEElllll.has_recursion, 0
	.set _ZN2at6native12_GLOBAL__N_127reflection_pad3d_out_kernelIN3c107complexIdEEEEvN5torch10headeronly6detail27GenericPackedTensorAccessorINS8_14TensorAccessorINS3_8ArrayRefIlEEKT_Lm4ENS7_16DefaultPtrTraitsElEENS_6detail16IndexBoundsCheckILm5ElEESE_Lm5ESF_lEENS9_INSA_ISC_SD_Lm4ESF_lEESJ_SD_Lm5ESF_lEElllll.has_indirect_call, 0
	.section	.AMDGPU.csdata,"",@progbits
; Kernel info:
; codeLenInByte = 3648
; TotalNumSgprs: 63
; NumVgprs: 17
; NumAgprs: 0
; TotalNumVgprs: 17
; ScratchSize: 0
; MemoryBound: 0
; FloatMode: 240
; IeeeMode: 1
; LDSByteSize: 0 bytes/workgroup (compile time only)
; SGPRBlocks: 7
; VGPRBlocks: 2
; NumSGPRsForWavesPerEU: 63
; NumVGPRsForWavesPerEU: 17
; AccumOffset: 20
; Occupancy: 8
; WaveLimiterHint : 0
; COMPUTE_PGM_RSRC2:SCRATCH_EN: 0
; COMPUTE_PGM_RSRC2:USER_SGPR: 2
; COMPUTE_PGM_RSRC2:TRAP_HANDLER: 0
; COMPUTE_PGM_RSRC2:TGID_X_EN: 1
; COMPUTE_PGM_RSRC2:TGID_Y_EN: 1
; COMPUTE_PGM_RSRC2:TGID_Z_EN: 1
; COMPUTE_PGM_RSRC2:TIDIG_COMP_CNT: 0
; COMPUTE_PGM_RSRC3_GFX90A:ACCUM_OFFSET: 4
; COMPUTE_PGM_RSRC3_GFX90A:TG_SPLIT: 0
	.section	.text._ZN2at6native12_GLOBAL__N_127reflection_pad3d_out_kernelIN3c107complexIfEEEEvN5torch10headeronly6detail27GenericPackedTensorAccessorINS8_14TensorAccessorINS3_8ArrayRefIlEEKT_Lm4ENS7_16DefaultPtrTraitsElEENS_6detail16IndexBoundsCheckILm5ElEESE_Lm5ESF_lEENS9_INSA_ISC_SD_Lm4ESF_lEESJ_SD_Lm5ESF_lEElllll,"axG",@progbits,_ZN2at6native12_GLOBAL__N_127reflection_pad3d_out_kernelIN3c107complexIfEEEEvN5torch10headeronly6detail27GenericPackedTensorAccessorINS8_14TensorAccessorINS3_8ArrayRefIlEEKT_Lm4ENS7_16DefaultPtrTraitsElEENS_6detail16IndexBoundsCheckILm5ElEESE_Lm5ESF_lEENS9_INSA_ISC_SD_Lm4ESF_lEESJ_SD_Lm5ESF_lEElllll,comdat
	.globl	_ZN2at6native12_GLOBAL__N_127reflection_pad3d_out_kernelIN3c107complexIfEEEEvN5torch10headeronly6detail27GenericPackedTensorAccessorINS8_14TensorAccessorINS3_8ArrayRefIlEEKT_Lm4ENS7_16DefaultPtrTraitsElEENS_6detail16IndexBoundsCheckILm5ElEESE_Lm5ESF_lEENS9_INSA_ISC_SD_Lm4ESF_lEESJ_SD_Lm5ESF_lEElllll ; -- Begin function _ZN2at6native12_GLOBAL__N_127reflection_pad3d_out_kernelIN3c107complexIfEEEEvN5torch10headeronly6detail27GenericPackedTensorAccessorINS8_14TensorAccessorINS3_8ArrayRefIlEEKT_Lm4ENS7_16DefaultPtrTraitsElEENS_6detail16IndexBoundsCheckILm5ElEESE_Lm5ESF_lEENS9_INSA_ISC_SD_Lm4ESF_lEESJ_SD_Lm5ESF_lEElllll
	.p2align	8
	.type	_ZN2at6native12_GLOBAL__N_127reflection_pad3d_out_kernelIN3c107complexIfEEEEvN5torch10headeronly6detail27GenericPackedTensorAccessorINS8_14TensorAccessorINS3_8ArrayRefIlEEKT_Lm4ENS7_16DefaultPtrTraitsElEENS_6detail16IndexBoundsCheckILm5ElEESE_Lm5ESF_lEENS9_INSA_ISC_SD_Lm4ESF_lEESJ_SD_Lm5ESF_lEElllll,@function
_ZN2at6native12_GLOBAL__N_127reflection_pad3d_out_kernelIN3c107complexIfEEEEvN5torch10headeronly6detail27GenericPackedTensorAccessorINS8_14TensorAccessorINS3_8ArrayRefIlEEKT_Lm4ENS7_16DefaultPtrTraitsElEENS_6detail16IndexBoundsCheckILm5ElEESE_Lm5ESF_lEENS9_INSA_ISC_SD_Lm4ESF_lEESJ_SD_Lm5ESF_lEElllll: ; @_ZN2at6native12_GLOBAL__N_127reflection_pad3d_out_kernelIN3c107complexIfEEEEvN5torch10headeronly6detail27GenericPackedTensorAccessorINS8_14TensorAccessorINS3_8ArrayRefIlEEKT_Lm4ENS7_16DefaultPtrTraitsElEENS_6detail16IndexBoundsCheckILm5ElEESE_Lm5ESF_lEENS9_INSA_ISC_SD_Lm4ESF_lEESJ_SD_Lm5ESF_lEElllll
; %bb.0:
	s_load_dword s5, s[0:1], 0xe4
	s_load_dwordx4 s[8:11], s[0:1], 0x70
	s_load_dwordx2 s[34:35], s[0:1], 0x80
	v_mov_b32_e32 v2, 0
	v_mov_b32_e32 v1, v2
	s_waitcnt lgkmcnt(0)
	s_and_b32 s5, s5, 0xffff
	v_mov_b32_e32 v3, s2
	v_mad_u64_u32 v[0:1], s[6:7], s5, v3, v[0:1]
	s_mul_i32 s2, s34, s11
	s_mul_hi_u32 s5, s34, s10
	s_add_i32 s5, s5, s2
	s_mul_i32 s2, s35, s10
	s_add_i32 s5, s5, s2
	s_mul_i32 s2, s34, s10
	s_mul_i32 s6, s2, s9
	s_mul_hi_u32 s7, s2, s8
	s_add_i32 s6, s7, s6
	s_mul_i32 s7, s5, s8
	s_add_i32 s7, s6, s7
	s_mul_i32 s6, s2, s8
	v_cmp_gt_i64_e32 vcc, s[6:7], v[0:1]
	s_and_saveexec_b64 s[6:7], vcc
	s_cbranch_execz .LBB65_14
; %bb.1:
	v_or_b32_e32 v3, s35, v1
	v_cmp_ne_u64_e32 vcc, 0, v[2:3]
	v_ashrrev_i32_e32 v2, 31, v1
                                        ; implicit-def: $vgpr6_vgpr7
	s_and_saveexec_b64 s[6:7], vcc
	s_xor_b64 s[8:9], exec, s[6:7]
	s_cbranch_execz .LBB65_3
; %bb.2:
	s_ashr_i32 s12, s35, 31
	s_add_u32 s6, s34, s12
	s_mov_b32 s13, s12
	s_addc_u32 s7, s35, s12
	s_xor_b64 s[14:15], s[6:7], s[12:13]
	v_cvt_f32_u32_e32 v3, s14
	v_cvt_f32_u32_e32 v4, s15
	s_sub_u32 s13, 0, s14
	s_subb_u32 s16, 0, s15
	v_mov_b32_e32 v7, 0
	v_fmamk_f32 v3, v4, 0x4f800000, v3
	v_rcp_f32_e32 v3, v3
	s_nop 0
	v_mul_f32_e32 v3, 0x5f7ffffc, v3
	v_mul_f32_e32 v4, 0x2f800000, v3
	v_trunc_f32_e32 v4, v4
	v_fmamk_f32 v3, v4, 0xcf800000, v3
	v_cvt_u32_f32_e32 v4, v4
	v_cvt_u32_f32_e32 v3, v3
	v_readfirstlane_b32 s17, v4
	v_readfirstlane_b32 s6, v3
	s_mul_i32 s7, s13, s17
	s_mul_hi_u32 s19, s13, s6
	s_mul_i32 s18, s16, s6
	s_add_i32 s7, s19, s7
	s_add_i32 s7, s7, s18
	s_mul_i32 s20, s13, s6
	s_mul_i32 s19, s6, s7
	s_mul_hi_u32 s21, s6, s20
	s_mul_hi_u32 s18, s6, s7
	s_add_u32 s19, s21, s19
	s_addc_u32 s18, 0, s18
	s_mul_hi_u32 s22, s17, s20
	s_mul_i32 s20, s17, s20
	s_add_u32 s19, s19, s20
	s_mul_hi_u32 s21, s17, s7
	s_addc_u32 s18, s18, s22
	s_addc_u32 s19, s21, 0
	s_mul_i32 s7, s17, s7
	s_add_u32 s7, s18, s7
	s_addc_u32 s18, 0, s19
	s_add_u32 s19, s6, s7
	s_cselect_b64 s[6:7], -1, 0
	s_cmp_lg_u64 s[6:7], 0
	s_addc_u32 s17, s17, s18
	s_mul_i32 s6, s13, s17
	s_mul_hi_u32 s7, s13, s19
	s_add_i32 s6, s7, s6
	s_mul_i32 s16, s16, s19
	s_add_i32 s6, s6, s16
	s_mul_i32 s13, s13, s19
	s_mul_hi_u32 s16, s17, s13
	s_mul_i32 s18, s17, s13
	s_mul_i32 s21, s19, s6
	s_mul_hi_u32 s13, s19, s13
	s_mul_hi_u32 s20, s19, s6
	s_add_u32 s13, s13, s21
	s_addc_u32 s20, 0, s20
	s_add_u32 s13, s13, s18
	s_mul_hi_u32 s7, s17, s6
	s_addc_u32 s13, s20, s16
	s_addc_u32 s7, s7, 0
	s_mul_i32 s6, s17, s6
	s_add_u32 s6, s13, s6
	s_addc_u32 s13, 0, s7
	s_add_u32 s16, s19, s6
	s_cselect_b64 s[6:7], -1, 0
	v_mov_b32_e32 v3, v2
	s_cmp_lg_u64 s[6:7], 0
	v_lshl_add_u64 v[4:5], v[0:1], 0, v[2:3]
	s_addc_u32 s13, s17, s13
	v_xor_b32_e32 v12, v4, v2
	v_xor_b32_e32 v3, v5, v2
	v_mad_u64_u32 v[4:5], s[6:7], v12, s13, 0
	v_mul_hi_u32 v6, v12, s16
	v_lshl_add_u64 v[4:5], v[6:7], 0, v[4:5]
	v_mad_u64_u32 v[10:11], s[6:7], v3, s16, 0
	v_add_co_u32_e32 v4, vcc, v4, v10
	v_mad_u64_u32 v[8:9], s[6:7], v3, s13, 0
	s_nop 0
	v_addc_co_u32_e32 v6, vcc, v5, v11, vcc
	s_nop 1
	v_addc_co_u32_e32 v9, vcc, 0, v9, vcc
	v_lshl_add_u64 v[4:5], v[6:7], 0, v[8:9]
	v_mul_lo_u32 v8, s15, v4
	v_mul_lo_u32 v9, s14, v5
	v_mad_u64_u32 v[6:7], s[6:7], s14, v4, 0
	v_add3_u32 v10, v7, v9, v8
	v_sub_u32_e32 v7, v3, v10
	v_mov_b32_e32 v8, s15
	v_sub_co_u32_e32 v11, vcc, v12, v6
	s_nop 1
	v_subb_co_u32_e64 v6, s[6:7], v7, v8, vcc
	v_subrev_co_u32_e64 v7, s[6:7], s14, v11
	v_subb_co_u32_e32 v3, vcc, v3, v10, vcc
	s_nop 0
	v_subbrev_co_u32_e64 v6, s[6:7], 0, v6, s[6:7]
	v_cmp_le_u32_e64 s[6:7], s15, v6
	v_cmp_le_u32_e32 vcc, s15, v3
	s_nop 0
	v_cndmask_b32_e64 v8, 0, -1, s[6:7]
	v_cmp_le_u32_e64 s[6:7], s14, v7
	s_nop 1
	v_cndmask_b32_e64 v7, 0, -1, s[6:7]
	v_cmp_eq_u32_e64 s[6:7], s15, v6
	s_nop 1
	v_cndmask_b32_e64 v12, v8, v7, s[6:7]
	v_lshl_add_u64 v[6:7], v[4:5], 0, 2
	v_lshl_add_u64 v[8:9], v[4:5], 0, 1
	v_cmp_ne_u32_e64 s[6:7], 0, v12
	s_nop 1
	v_cndmask_b32_e64 v7, v9, v7, s[6:7]
	v_cndmask_b32_e64 v9, 0, -1, vcc
	v_cmp_le_u32_e32 vcc, s14, v11
	s_nop 1
	v_cndmask_b32_e64 v10, 0, -1, vcc
	v_cmp_eq_u32_e32 vcc, s15, v3
	s_nop 1
	v_cndmask_b32_e32 v3, v9, v10, vcc
	v_cmp_ne_u32_e32 vcc, 0, v3
	s_nop 1
	v_cndmask_b32_e32 v3, v5, v7, vcc
	v_cndmask_b32_e64 v5, v8, v6, s[6:7]
	v_cndmask_b32_e32 v4, v4, v5, vcc
	v_xor_b32_e32 v5, s12, v2
	v_xor_b32_e32 v4, v4, v5
	;; [unrolled: 1-line block ×3, first 2 shown]
	v_sub_co_u32_e32 v6, vcc, v4, v5
	s_nop 1
	v_subb_co_u32_e32 v7, vcc, v3, v5, vcc
.LBB65_3:
	s_andn2_saveexec_b64 s[6:7], s[8:9]
	s_cbranch_execz .LBB65_5
; %bb.4:
	v_cvt_f32_u32_e32 v3, s34
	s_sub_i32 s8, 0, s34
	v_mov_b32_e32 v7, 0
	v_rcp_iflag_f32_e32 v3, v3
	s_nop 0
	v_mul_f32_e32 v3, 0x4f7ffffe, v3
	v_cvt_u32_f32_e32 v3, v3
	v_mul_lo_u32 v4, s8, v3
	v_mul_hi_u32 v4, v3, v4
	v_add_u32_e32 v3, v3, v4
	v_mul_hi_u32 v3, v0, v3
	v_mul_lo_u32 v4, v3, s34
	v_sub_u32_e32 v4, v0, v4
	v_add_u32_e32 v5, 1, v3
	v_subrev_u32_e32 v6, s34, v4
	v_cmp_le_u32_e32 vcc, s34, v4
	s_nop 1
	v_cndmask_b32_e32 v4, v4, v6, vcc
	v_cndmask_b32_e32 v3, v3, v5, vcc
	v_add_u32_e32 v5, 1, v3
	v_cmp_le_u32_e32 vcc, s34, v4
	s_nop 1
	v_cndmask_b32_e32 v6, v3, v5, vcc
.LBB65_5:
	s_or_b64 exec, exec, s[6:7]
	v_or_b32_e32 v9, s11, v7
	v_mov_b32_e32 v8, 0
	v_cmp_ne_u64_e32 vcc, 0, v[8:9]
                                        ; implicit-def: $vgpr4_vgpr5
	s_and_saveexec_b64 s[6:7], vcc
	s_xor_b64 s[12:13], exec, s[6:7]
	s_cbranch_execz .LBB65_7
; %bb.6:
	s_ashr_i32 s6, s11, 31
	s_add_u32 s8, s10, s6
	s_mov_b32 s7, s6
	s_addc_u32 s9, s11, s6
	s_xor_b64 s[14:15], s[8:9], s[6:7]
	v_cvt_f32_u32_e32 v3, s14
	v_cvt_f32_u32_e32 v4, s15
	s_sub_u32 s8, 0, s14
	s_subb_u32 s9, 0, s15
	v_ashrrev_i32_e32 v10, 31, v7
	v_fmamk_f32 v3, v4, 0x4f800000, v3
	v_rcp_f32_e32 v3, v3
	v_mov_b32_e32 v11, v10
	v_mov_b32_e32 v13, v8
	v_mul_f32_e32 v3, 0x5f7ffffc, v3
	v_mul_f32_e32 v4, 0x2f800000, v3
	v_trunc_f32_e32 v4, v4
	v_fmamk_f32 v3, v4, 0xcf800000, v3
	v_cvt_u32_f32_e32 v4, v4
	v_cvt_u32_f32_e32 v3, v3
	v_readfirstlane_b32 s11, v4
	v_readfirstlane_b32 s6, v3
	s_mul_i32 s7, s8, s11
	s_mul_hi_u32 s17, s8, s6
	s_mul_i32 s16, s9, s6
	s_add_i32 s7, s17, s7
	s_add_i32 s7, s7, s16
	s_mul_i32 s18, s8, s6
	s_mul_i32 s17, s6, s7
	s_mul_hi_u32 s19, s6, s18
	s_mul_hi_u32 s16, s6, s7
	s_add_u32 s17, s19, s17
	s_addc_u32 s16, 0, s16
	s_mul_hi_u32 s20, s11, s18
	s_mul_i32 s18, s11, s18
	s_add_u32 s17, s17, s18
	s_mul_hi_u32 s19, s11, s7
	s_addc_u32 s16, s16, s20
	s_addc_u32 s17, s19, 0
	s_mul_i32 s7, s11, s7
	s_add_u32 s7, s16, s7
	s_addc_u32 s16, 0, s17
	s_add_u32 s17, s6, s7
	s_cselect_b64 s[6:7], -1, 0
	s_cmp_lg_u64 s[6:7], 0
	s_addc_u32 s11, s11, s16
	s_mul_i32 s6, s8, s11
	s_mul_hi_u32 s7, s8, s17
	s_add_i32 s6, s7, s6
	s_mul_i32 s9, s9, s17
	s_add_i32 s6, s6, s9
	s_mul_i32 s8, s8, s17
	s_mul_hi_u32 s9, s11, s8
	s_mul_i32 s16, s11, s8
	s_mul_i32 s19, s17, s6
	s_mul_hi_u32 s8, s17, s8
	s_mul_hi_u32 s18, s17, s6
	s_add_u32 s8, s8, s19
	s_addc_u32 s18, 0, s18
	s_add_u32 s8, s8, s16
	s_mul_hi_u32 s7, s11, s6
	s_addc_u32 s8, s18, s9
	s_addc_u32 s7, s7, 0
	s_mul_i32 s6, s11, s6
	s_add_u32 s6, s8, s6
	s_addc_u32 s8, 0, s7
	s_add_u32 s9, s17, s6
	s_cselect_b64 s[6:7], -1, 0
	s_cmp_lg_u64 s[6:7], 0
	v_lshl_add_u64 v[4:5], v[6:7], 0, v[10:11]
	s_addc_u32 s8, s11, s8
	v_xor_b32_e32 v9, v4, v10
	v_xor_b32_e32 v3, v5, v10
	v_mad_u64_u32 v[4:5], s[6:7], v9, s8, 0
	v_mul_hi_u32 v12, v9, s9
	v_lshl_add_u64 v[4:5], v[12:13], 0, v[4:5]
	v_mad_u64_u32 v[14:15], s[6:7], v3, s9, 0
	v_add_co_u32_e32 v4, vcc, v4, v14
	v_mad_u64_u32 v[12:13], s[6:7], v3, s8, 0
	s_nop 0
	v_addc_co_u32_e32 v4, vcc, v5, v15, vcc
	v_mov_b32_e32 v5, v8
	s_nop 0
	v_addc_co_u32_e32 v13, vcc, 0, v13, vcc
	v_lshl_add_u64 v[4:5], v[4:5], 0, v[12:13]
	v_mul_lo_u32 v8, s15, v4
	v_mul_lo_u32 v11, s14, v5
	v_mad_u64_u32 v[4:5], s[6:7], s14, v4, 0
	v_add3_u32 v5, v5, v11, v8
	v_sub_u32_e32 v8, v3, v5
	v_mov_b32_e32 v11, s15
	v_sub_co_u32_e32 v4, vcc, v9, v4
	s_nop 1
	v_subb_co_u32_e64 v8, s[6:7], v8, v11, vcc
	v_subrev_co_u32_e64 v9, s[6:7], s14, v4
	v_subb_co_u32_e32 v3, vcc, v3, v5, vcc
	s_nop 0
	v_subbrev_co_u32_e64 v12, s[8:9], 0, v8, s[6:7]
	v_cmp_le_u32_e64 s[8:9], s15, v12
	v_subb_co_u32_e64 v8, s[6:7], v8, v11, s[6:7]
	s_nop 0
	v_cndmask_b32_e64 v13, 0, -1, s[8:9]
	v_cmp_le_u32_e64 s[8:9], s14, v9
	v_subrev_co_u32_e64 v11, s[6:7], s14, v9
	s_nop 0
	v_cndmask_b32_e64 v14, 0, -1, s[8:9]
	v_cmp_eq_u32_e64 s[8:9], s15, v12
	v_subbrev_co_u32_e64 v8, s[6:7], 0, v8, s[6:7]
	s_nop 0
	v_cndmask_b32_e64 v13, v13, v14, s[8:9]
	v_cmp_le_u32_e32 vcc, s15, v3
	v_cmp_ne_u32_e64 s[6:7], 0, v13
	s_nop 0
	v_cndmask_b32_e64 v5, 0, -1, vcc
	v_cmp_le_u32_e32 vcc, s14, v4
	v_cndmask_b32_e64 v8, v12, v8, s[6:7]
	s_nop 0
	v_cndmask_b32_e64 v12, 0, -1, vcc
	v_cmp_eq_u32_e32 vcc, s15, v3
	s_nop 1
	v_cndmask_b32_e32 v5, v5, v12, vcc
	v_cmp_ne_u32_e32 vcc, 0, v5
	v_cndmask_b32_e64 v5, v9, v11, s[6:7]
	s_nop 0
	v_cndmask_b32_e32 v4, v4, v5, vcc
	v_cndmask_b32_e32 v3, v3, v8, vcc
	v_xor_b32_e32 v4, v4, v10
	v_xor_b32_e32 v3, v3, v10
	v_sub_co_u32_e32 v4, vcc, v4, v10
	s_nop 1
	v_subb_co_u32_e32 v5, vcc, v3, v10, vcc
.LBB65_7:
	s_or_saveexec_b64 s[6:7], s[12:13]
	s_load_dwordx2 s[44:45], s[0:1], 0xa8
	s_load_dwordx8 s[24:31], s[0:1], 0x88
	s_xor_b64 exec, exec, s[6:7]
	s_cbranch_execz .LBB65_9
; %bb.8:
	v_cvt_f32_u32_e32 v3, s10
	s_sub_i32 s8, 0, s10
	v_mov_b32_e32 v5, 0
	v_rcp_iflag_f32_e32 v3, v3
	s_nop 0
	v_mul_f32_e32 v3, 0x4f7ffffe, v3
	v_cvt_u32_f32_e32 v3, v3
	v_mul_lo_u32 v4, s8, v3
	v_mul_hi_u32 v4, v3, v4
	v_add_u32_e32 v3, v3, v4
	v_mul_hi_u32 v3, v6, v3
	v_mul_lo_u32 v3, v3, s10
	v_sub_u32_e32 v3, v6, v3
	v_subrev_u32_e32 v4, s10, v3
	v_cmp_le_u32_e32 vcc, s10, v3
	s_nop 1
	v_cndmask_b32_e32 v3, v3, v4, vcc
	v_subrev_u32_e32 v4, s10, v3
	v_cmp_le_u32_e32 vcc, s10, v3
	s_nop 1
	v_cndmask_b32_e32 v4, v3, v4, vcc
.LBB65_9:
	s_or_b64 exec, exec, s[6:7]
	s_load_dwordx2 s[46:47], s[0:1], 0x58
	s_load_dwordx2 s[48:49], s[0:1], 0x0
	v_or_b32_e32 v11, s5, v1
	v_mov_b32_e32 v10, 0
	v_cmp_ne_u64_e32 vcc, 0, v[10:11]
                                        ; implicit-def: $vgpr8_vgpr9
	s_and_saveexec_b64 s[6:7], vcc
	s_xor_b64 s[8:9], exec, s[6:7]
	s_cbranch_execz .LBB65_11
; %bb.10:
	s_ashr_i32 s10, s5, 31
	s_add_u32 s6, s2, s10
	s_mov_b32 s11, s10
	s_addc_u32 s7, s5, s10
	s_xor_b64 s[12:13], s[6:7], s[10:11]
	v_cvt_f32_u32_e32 v3, s12
	v_cvt_f32_u32_e32 v8, s13
	s_sub_u32 s5, 0, s12
	s_subb_u32 s11, 0, s13
	v_mov_b32_e32 v13, v10
	v_fmamk_f32 v3, v8, 0x4f800000, v3
	v_rcp_f32_e32 v3, v3
	s_nop 0
	v_mul_f32_e32 v3, 0x5f7ffffc, v3
	v_mul_f32_e32 v8, 0x2f800000, v3
	v_trunc_f32_e32 v8, v8
	v_fmamk_f32 v3, v8, 0xcf800000, v3
	v_cvt_u32_f32_e32 v8, v8
	v_cvt_u32_f32_e32 v3, v3
	v_readfirstlane_b32 s14, v8
	v_readfirstlane_b32 s6, v3
	s_mul_i32 s7, s5, s14
	s_mul_hi_u32 s16, s5, s6
	s_mul_i32 s15, s11, s6
	s_add_i32 s7, s16, s7
	s_add_i32 s7, s7, s15
	s_mul_i32 s17, s5, s6
	s_mul_i32 s16, s6, s7
	s_mul_hi_u32 s18, s6, s17
	s_mul_hi_u32 s15, s6, s7
	s_add_u32 s16, s18, s16
	s_addc_u32 s15, 0, s15
	s_mul_hi_u32 s19, s14, s17
	s_mul_i32 s17, s14, s17
	s_add_u32 s16, s16, s17
	s_mul_hi_u32 s18, s14, s7
	s_addc_u32 s15, s15, s19
	s_addc_u32 s16, s18, 0
	s_mul_i32 s7, s14, s7
	s_add_u32 s7, s15, s7
	s_addc_u32 s15, 0, s16
	s_add_u32 s16, s6, s7
	s_cselect_b64 s[6:7], -1, 0
	s_cmp_lg_u64 s[6:7], 0
	s_addc_u32 s14, s14, s15
	s_mul_i32 s6, s5, s14
	s_mul_hi_u32 s7, s5, s16
	s_add_i32 s6, s7, s6
	s_mul_i32 s11, s11, s16
	s_add_i32 s6, s6, s11
	s_mul_i32 s5, s5, s16
	s_mul_hi_u32 s11, s14, s5
	s_mul_i32 s15, s14, s5
	s_mul_i32 s18, s16, s6
	s_mul_hi_u32 s5, s16, s5
	s_mul_hi_u32 s17, s16, s6
	s_add_u32 s5, s5, s18
	s_addc_u32 s17, 0, s17
	s_add_u32 s5, s5, s15
	s_mul_hi_u32 s7, s14, s6
	s_addc_u32 s5, s17, s11
	s_addc_u32 s7, s7, 0
	s_mul_i32 s6, s14, s6
	s_add_u32 s5, s5, s6
	s_addc_u32 s11, 0, s7
	s_add_u32 s5, s16, s5
	s_cselect_b64 s[6:7], -1, 0
	v_mov_b32_e32 v3, v2
	s_cmp_lg_u64 s[6:7], 0
	v_lshl_add_u64 v[8:9], v[0:1], 0, v[2:3]
	s_addc_u32 s11, s14, s11
	v_xor_b32_e32 v16, v8, v2
	v_xor_b32_e32 v3, v9, v2
	v_mad_u64_u32 v[8:9], s[6:7], v16, s11, 0
	v_mul_hi_u32 v12, v16, s5
	v_lshl_add_u64 v[8:9], v[12:13], 0, v[8:9]
	v_mad_u64_u32 v[14:15], s[6:7], v3, s5, 0
	v_add_co_u32_e32 v8, vcc, v8, v14
	v_mad_u64_u32 v[12:13], s[6:7], v3, s11, 0
	s_nop 0
	v_addc_co_u32_e32 v8, vcc, v9, v15, vcc
	v_mov_b32_e32 v9, v10
	s_nop 0
	v_addc_co_u32_e32 v13, vcc, 0, v13, vcc
	v_lshl_add_u64 v[8:9], v[8:9], 0, v[12:13]
	v_mul_lo_u32 v12, s13, v8
	v_mul_lo_u32 v13, s12, v9
	v_mad_u64_u32 v[10:11], s[6:7], s12, v8, 0
	v_add3_u32 v14, v11, v13, v12
	v_sub_u32_e32 v11, v3, v14
	v_mov_b32_e32 v12, s13
	v_sub_co_u32_e32 v15, vcc, v16, v10
	v_xor_b32_e32 v2, s10, v2
	s_nop 0
	v_subb_co_u32_e64 v10, s[6:7], v11, v12, vcc
	v_subrev_co_u32_e64 v11, s[6:7], s12, v15
	v_subb_co_u32_e32 v3, vcc, v3, v14, vcc
	s_nop 0
	v_subbrev_co_u32_e64 v10, s[6:7], 0, v10, s[6:7]
	v_cmp_le_u32_e64 s[6:7], s13, v10
	v_cmp_le_u32_e32 vcc, s13, v3
	s_nop 0
	v_cndmask_b32_e64 v12, 0, -1, s[6:7]
	v_cmp_le_u32_e64 s[6:7], s12, v11
	s_nop 1
	v_cndmask_b32_e64 v11, 0, -1, s[6:7]
	v_cmp_eq_u32_e64 s[6:7], s13, v10
	s_nop 1
	v_cndmask_b32_e64 v16, v12, v11, s[6:7]
	v_lshl_add_u64 v[10:11], v[8:9], 0, 2
	v_lshl_add_u64 v[12:13], v[8:9], 0, 1
	v_cmp_ne_u32_e64 s[6:7], 0, v16
	s_nop 1
	v_cndmask_b32_e64 v11, v13, v11, s[6:7]
	v_cndmask_b32_e64 v13, 0, -1, vcc
	v_cmp_le_u32_e32 vcc, s12, v15
	s_nop 1
	v_cndmask_b32_e64 v14, 0, -1, vcc
	v_cmp_eq_u32_e32 vcc, s13, v3
	s_nop 1
	v_cndmask_b32_e32 v3, v13, v14, vcc
	v_cmp_ne_u32_e32 vcc, 0, v3
	s_nop 1
	v_cndmask_b32_e32 v3, v9, v11, vcc
	v_cndmask_b32_e64 v9, v12, v10, s[6:7]
	v_cndmask_b32_e32 v8, v8, v9, vcc
	v_xor_b32_e32 v8, v8, v2
	v_xor_b32_e32 v3, v3, v2
	v_sub_co_u32_e32 v8, vcc, v8, v2
	s_nop 1
	v_subb_co_u32_e32 v9, vcc, v3, v2, vcc
.LBB65_11:
	s_or_saveexec_b64 s[6:7], s[8:9]
	s_load_dwordx16 s[8:23], s[0:1], 0x18
	s_xor_b64 exec, exec, s[6:7]
	s_cbranch_execz .LBB65_13
; %bb.12:
	v_cvt_f32_u32_e32 v2, s2
	s_sub_i32 s5, 0, s2
	v_rcp_iflag_f32_e32 v2, v2
	s_nop 0
	v_mul_f32_e32 v2, 0x4f7ffffe, v2
	v_cvt_u32_f32_e32 v2, v2
	v_mul_lo_u32 v3, s5, v2
	v_mul_hi_u32 v3, v2, v3
	v_add_u32_e32 v2, v2, v3
	v_mul_hi_u32 v2, v0, v2
	v_mul_lo_u32 v3, v2, s2
	v_sub_u32_e32 v3, v0, v3
	v_add_u32_e32 v8, 1, v2
	v_subrev_u32_e32 v9, s2, v3
	v_cmp_le_u32_e32 vcc, s2, v3
	s_nop 1
	v_cndmask_b32_e32 v3, v3, v9, vcc
	v_cndmask_b32_e32 v2, v2, v8, vcc
	v_add_u32_e32 v8, 1, v2
	v_cmp_le_u32_e32 vcc, s2, v3
	v_mov_b32_e32 v9, 0
	s_nop 0
	v_cndmask_b32_e32 v8, v2, v8, vcc
.LBB65_13:
	s_or_b64 exec, exec, s[6:7]
	s_load_dwordx8 s[36:43], s[0:1], 0xb0
	v_mad_u64_u32 v[2:3], s[6:7], v6, s34, 0
	v_mul_lo_u32 v7, v7, s34
	v_mul_lo_u32 v10, v6, s35
	s_waitcnt lgkmcnt(0)
	s_sub_u32 s6, 0, s36
	s_subb_u32 s7, 0, s37
	s_sub_u32 s34, 0, s38
	s_subb_u32 s35, 0, s39
	;; [unrolled: 2-line block ×3, first 2 shown]
	v_cmp_gt_i64_e64 s[52:53], s[6:7], 0
	s_and_b64 s[52:53], s[52:53], exec
	s_cselect_b32 s2, s7, 0
	s_cselect_b32 s5, s6, 0
	v_cmp_gt_i64_e64 s[6:7], s[36:37], 0
	s_and_b64 s[6:7], s[6:7], exec
	v_cmp_gt_i64_e64 s[6:7], s[34:35], 0
	s_cselect_b32 s53, s37, 0
	s_cselect_b32 s52, s36, 0
	s_and_b64 s[6:7], s[6:7], exec
	v_add3_u32 v3, v3, v10, v7
	v_sub_co_u32_e32 v0, vcc, v0, v2
	v_cmp_gt_i64_e64 s[6:7], s[38:39], 0
	s_nop 0
	v_subb_co_u32_e32 v1, vcc, v1, v3, vcc
	s_cselect_b32 s33, s35, 0
	s_cselect_b32 s54, s34, 0
	s_and_b64 s[6:7], s[6:7], exec
	v_cmp_gt_i64_e64 s[6:7], s[50:51], 0
	v_mov_b32_e32 v2, s37
	v_subrev_co_u32_e32 v3, vcc, s36, v0
	s_cselect_b32 s35, s39, 0
	s_cselect_b32 s34, s38, 0
	s_and_b64 s[6:7], s[6:7], exec
	v_subb_co_u32_e32 v2, vcc, v1, v2, vcc
	v_cmp_gt_i64_e64 s[6:7], s[40:41], 0
	v_ashrrev_i32_e32 v6, 31, v2
	s_cselect_b32 s55, s51, 0
	s_cselect_b32 s56, s50, 0
	s_and_b64 s[6:7], s[6:7], exec
	v_xor_b32_e32 v7, v2, v6
	v_xor_b32_e32 v2, v3, v6
	s_cselect_b32 s7, s41, 0
	s_cselect_b32 s6, s40, 0
	v_sub_co_u32_e32 v2, vcc, v2, v6
	s_add_u32 s50, s36, s12
	s_nop 0
	v_subb_co_u32_e32 v3, vcc, v7, v6, vcc
	s_addc_u32 s51, s37, s13
	v_mov_b32_e32 v7, s51
	v_subrev_co_u32_e32 v6, vcc, s50, v0
	s_lshl_b64 s[36:37], s[36:37], 1
	s_nop 0
	v_subb_co_u32_e32 v7, vcc, v1, v7, vcc
	s_not_b64 s[50:51], s[52:53]
	v_lshl_add_u64 v[6:7], v[6:7], 0, 1
	s_add_u32 s36, s36, s50
	v_ashrrev_i32_e32 v10, 31, v7
	s_addc_u32 s37, s37, s51
	v_xor_b32_e32 v6, v6, v10
	s_add_u32 s5, s36, s5
	v_xor_b32_e32 v7, v7, v10
	v_sub_co_u32_e32 v6, vcc, v6, v10
	s_addc_u32 s2, s37, s2
	s_nop 0
	v_subb_co_u32_e32 v7, vcc, v7, v10, vcc
	s_add_u32 s5, s5, s12
	s_addc_u32 s2, s2, s13
	v_lshl_add_u64 v[6:7], v[0:1], 0, v[6:7]
	v_mov_b32_e32 v10, s2
	v_sub_co_u32_e32 v6, vcc, s5, v6
	s_add_u32 s2, s38, s10
	s_nop 0
	v_subb_co_u32_e32 v7, vcc, v10, v7, vcc
	v_lshl_add_u64 v[2:3], v[6:7], 0, v[2:3]
	v_mov_b32_e32 v6, s39
	v_subrev_co_u32_e32 v7, vcc, s38, v4
	s_addc_u32 s5, s39, s11
	s_nop 0
	v_subb_co_u32_e32 v6, vcc, v5, v6, vcc
	v_ashrrev_i32_e32 v10, 31, v6
	v_xor_b32_e32 v11, v6, v10
	v_xor_b32_e32 v6, v7, v10
	v_sub_co_u32_e32 v6, vcc, v6, v10
	s_lshl_b64 s[12:13], s[38:39], 1
	s_nop 0
	v_subb_co_u32_e32 v7, vcc, v11, v10, vcc
	v_mov_b32_e32 v11, s5
	v_subrev_co_u32_e32 v10, vcc, s2, v4
	s_not_b64 s[34:35], s[34:35]
	s_nop 0
	v_subb_co_u32_e32 v11, vcc, v5, v11, vcc
	v_lshl_add_u64 v[10:11], v[10:11], 0, 1
	s_add_u32 s2, s12, s34
	v_ashrrev_i32_e32 v12, 31, v11
	s_addc_u32 s5, s13, s35
	v_xor_b32_e32 v10, v10, v12
	s_add_u32 s2, s2, s54
	v_xor_b32_e32 v11, v11, v12
	v_sub_co_u32_e32 v10, vcc, v10, v12
	s_addc_u32 s5, s5, s33
	s_nop 0
	v_subb_co_u32_e32 v11, vcc, v11, v12, vcc
	s_add_u32 s2, s2, s10
	s_addc_u32 s5, s5, s11
	v_lshl_add_u64 v[10:11], v[4:5], 0, v[10:11]
	v_mov_b32_e32 v12, s5
	v_sub_co_u32_e32 v10, vcc, s2, v10
	s_add_u32 s2, s40, s8
	s_nop 0
	v_subb_co_u32_e32 v11, vcc, v12, v11, vcc
	v_lshl_add_u64 v[6:7], v[10:11], 0, v[6:7]
	v_mov_b32_e32 v10, s41
	v_subrev_co_u32_e32 v11, vcc, s40, v8
	s_addc_u32 s5, s41, s9
	s_nop 0
	v_subb_co_u32_e32 v10, vcc, v9, v10, vcc
	v_ashrrev_i32_e32 v12, 31, v10
	v_xor_b32_e32 v13, v10, v12
	v_xor_b32_e32 v10, v11, v12
	v_sub_co_u32_e32 v10, vcc, v10, v12
	s_lshl_b64 s[10:11], s[40:41], 1
	s_nop 0
	v_subb_co_u32_e32 v11, vcc, v13, v12, vcc
	s_not_b64 s[6:7], s[6:7]
	v_mov_b32_e32 v13, s5
	v_subrev_co_u32_e32 v12, vcc, s2, v8
	s_add_u32 s2, s10, s6
	s_nop 0
	v_subb_co_u32_e32 v13, vcc, v9, v13, vcc
	s_addc_u32 s5, s11, s7
	v_lshl_add_u64 v[12:13], v[12:13], 0, 1
	s_add_u32 s2, s2, s56
	s_load_dwordx2 s[0:1], s[0:1], 0xd0
	v_ashrrev_i32_e32 v14, 31, v13
	s_addc_u32 s5, s5, s55
	v_xor_b32_e32 v12, v12, v14
	s_add_u32 s2, s2, s8
	v_xor_b32_e32 v13, v13, v14
	v_sub_co_u32_e32 v12, vcc, v12, v14
	s_addc_u32 s5, s5, s9
	s_nop 0
	v_subb_co_u32_e32 v13, vcc, v13, v14, vcc
	v_mov_b32_e32 v14, s5
	s_add_u32 s5, s42, s3
	s_addc_u32 s6, s43, 0
	s_waitcnt lgkmcnt(0)
	s_add_u32 s4, s0, s4
	s_addc_u32 s7, s1, 0
	s_mul_i32 s0, s14, s7
	s_mul_hi_u32 s1, s14, s4
	s_add_i32 s0, s1, s0
	s_mul_i32 s1, s15, s4
	s_add_i32 s1, s0, s1
	s_mul_i32 s0, s14, s4
	v_lshl_add_u64 v[12:13], v[8:9], 0, v[12:13]
	s_lshl_b64 s[0:1], s[0:1], 3
	v_sub_co_u32_e32 v12, vcc, s2, v12
	s_add_u32 s2, s48, s0
	s_addc_u32 s3, s49, s1
	s_mul_i32 s0, s16, s6
	s_mul_hi_u32 s1, s16, s5
	s_add_i32 s0, s1, s0
	s_mul_i32 s1, s17, s5
	s_add_i32 s1, s0, s1
	s_mul_i32 s0, s16, s5
	v_subb_co_u32_e32 v13, vcc, v14, v13, vcc
	s_lshl_b64 s[0:1], s[0:1], 3
	v_lshl_add_u64 v[10:11], v[12:13], 0, v[10:11]
	s_add_u32 s0, s2, s0
	s_addc_u32 s1, s3, s1
	v_mul_lo_u32 v12, v11, s18
	v_mul_lo_u32 v13, v10, s19
	v_mad_u64_u32 v[10:11], s[2:3], v10, s18, 0
	v_add3_u32 v11, v11, v13, v12
	v_lshl_add_u64 v[10:11], v[10:11], 3, s[0:1]
	v_mul_lo_u32 v12, v7, s20
	v_mul_lo_u32 v13, v6, s21
	v_mad_u64_u32 v[6:7], s[0:1], v6, s20, 0
	v_add3_u32 v7, v7, v13, v12
	v_lshl_add_u64 v[6:7], v[6:7], 3, v[10:11]
	;; [unrolled: 5-line block ×3, first 2 shown]
	global_load_dwordx2 v[2:3], v[2:3], off
	s_mul_i32 s0, s24, s7
	s_mul_hi_u32 s1, s24, s4
	s_add_i32 s0, s1, s0
	s_mul_i32 s1, s25, s4
	s_add_i32 s1, s0, s1
	s_mul_i32 s0, s24, s4
	s_lshl_b64 s[0:1], s[0:1], 3
	s_add_u32 s2, s46, s0
	s_addc_u32 s3, s47, s1
	s_mul_i32 s0, s26, s6
	s_mul_hi_u32 s1, s26, s5
	s_add_i32 s0, s1, s0
	s_mul_i32 s1, s27, s5
	s_add_i32 s1, s0, s1
	s_mul_i32 s0, s26, s5
	s_lshl_b64 s[0:1], s[0:1], 3
	s_add_u32 s0, s2, s0
	s_addc_u32 s1, s3, s1
	v_mul_lo_u32 v9, v9, s28
	v_mul_lo_u32 v10, v8, s29
	v_mad_u64_u32 v[6:7], s[2:3], v8, s28, 0
	v_add3_u32 v7, v7, v10, v9
	v_lshl_add_u64 v[6:7], v[6:7], 3, s[0:1]
	v_mul_lo_u32 v8, v5, s30
	v_mul_lo_u32 v9, v4, s31
	v_mad_u64_u32 v[4:5], s[0:1], v4, s30, 0
	v_add3_u32 v5, v5, v9, v8
	v_lshl_add_u64 v[4:5], v[4:5], 3, v[6:7]
	;; [unrolled: 5-line block ×3, first 2 shown]
	s_waitcnt vmcnt(0)
	global_store_dwordx2 v[0:1], v[2:3], off
.LBB65_14:
	s_endpgm
	.section	.rodata,"a",@progbits
	.p2align	6, 0x0
	.amdhsa_kernel _ZN2at6native12_GLOBAL__N_127reflection_pad3d_out_kernelIN3c107complexIfEEEEvN5torch10headeronly6detail27GenericPackedTensorAccessorINS8_14TensorAccessorINS3_8ArrayRefIlEEKT_Lm4ENS7_16DefaultPtrTraitsElEENS_6detail16IndexBoundsCheckILm5ElEESE_Lm5ESF_lEENS9_INSA_ISC_SD_Lm4ESF_lEESJ_SD_Lm5ESF_lEElllll
		.amdhsa_group_segment_fixed_size 0
		.amdhsa_private_segment_fixed_size 0
		.amdhsa_kernarg_size 472
		.amdhsa_user_sgpr_count 2
		.amdhsa_user_sgpr_dispatch_ptr 0
		.amdhsa_user_sgpr_queue_ptr 0
		.amdhsa_user_sgpr_kernarg_segment_ptr 1
		.amdhsa_user_sgpr_dispatch_id 0
		.amdhsa_user_sgpr_kernarg_preload_length 0
		.amdhsa_user_sgpr_kernarg_preload_offset 0
		.amdhsa_user_sgpr_private_segment_size 0
		.amdhsa_uses_dynamic_stack 0
		.amdhsa_enable_private_segment 0
		.amdhsa_system_sgpr_workgroup_id_x 1
		.amdhsa_system_sgpr_workgroup_id_y 1
		.amdhsa_system_sgpr_workgroup_id_z 1
		.amdhsa_system_sgpr_workgroup_info 0
		.amdhsa_system_vgpr_workitem_id 0
		.amdhsa_next_free_vgpr 17
		.amdhsa_next_free_sgpr 57
		.amdhsa_accum_offset 20
		.amdhsa_reserve_vcc 1
		.amdhsa_float_round_mode_32 0
		.amdhsa_float_round_mode_16_64 0
		.amdhsa_float_denorm_mode_32 3
		.amdhsa_float_denorm_mode_16_64 3
		.amdhsa_dx10_clamp 1
		.amdhsa_ieee_mode 1
		.amdhsa_fp16_overflow 0
		.amdhsa_tg_split 0
		.amdhsa_exception_fp_ieee_invalid_op 0
		.amdhsa_exception_fp_denorm_src 0
		.amdhsa_exception_fp_ieee_div_zero 0
		.amdhsa_exception_fp_ieee_overflow 0
		.amdhsa_exception_fp_ieee_underflow 0
		.amdhsa_exception_fp_ieee_inexact 0
		.amdhsa_exception_int_div_zero 0
	.end_amdhsa_kernel
	.section	.text._ZN2at6native12_GLOBAL__N_127reflection_pad3d_out_kernelIN3c107complexIfEEEEvN5torch10headeronly6detail27GenericPackedTensorAccessorINS8_14TensorAccessorINS3_8ArrayRefIlEEKT_Lm4ENS7_16DefaultPtrTraitsElEENS_6detail16IndexBoundsCheckILm5ElEESE_Lm5ESF_lEENS9_INSA_ISC_SD_Lm4ESF_lEESJ_SD_Lm5ESF_lEElllll,"axG",@progbits,_ZN2at6native12_GLOBAL__N_127reflection_pad3d_out_kernelIN3c107complexIfEEEEvN5torch10headeronly6detail27GenericPackedTensorAccessorINS8_14TensorAccessorINS3_8ArrayRefIlEEKT_Lm4ENS7_16DefaultPtrTraitsElEENS_6detail16IndexBoundsCheckILm5ElEESE_Lm5ESF_lEENS9_INSA_ISC_SD_Lm4ESF_lEESJ_SD_Lm5ESF_lEElllll,comdat
.Lfunc_end65:
	.size	_ZN2at6native12_GLOBAL__N_127reflection_pad3d_out_kernelIN3c107complexIfEEEEvN5torch10headeronly6detail27GenericPackedTensorAccessorINS8_14TensorAccessorINS3_8ArrayRefIlEEKT_Lm4ENS7_16DefaultPtrTraitsElEENS_6detail16IndexBoundsCheckILm5ElEESE_Lm5ESF_lEENS9_INSA_ISC_SD_Lm4ESF_lEESJ_SD_Lm5ESF_lEElllll, .Lfunc_end65-_ZN2at6native12_GLOBAL__N_127reflection_pad3d_out_kernelIN3c107complexIfEEEEvN5torch10headeronly6detail27GenericPackedTensorAccessorINS8_14TensorAccessorINS3_8ArrayRefIlEEKT_Lm4ENS7_16DefaultPtrTraitsElEENS_6detail16IndexBoundsCheckILm5ElEESE_Lm5ESF_lEENS9_INSA_ISC_SD_Lm4ESF_lEESJ_SD_Lm5ESF_lEElllll
                                        ; -- End function
	.set _ZN2at6native12_GLOBAL__N_127reflection_pad3d_out_kernelIN3c107complexIfEEEEvN5torch10headeronly6detail27GenericPackedTensorAccessorINS8_14TensorAccessorINS3_8ArrayRefIlEEKT_Lm4ENS7_16DefaultPtrTraitsElEENS_6detail16IndexBoundsCheckILm5ElEESE_Lm5ESF_lEENS9_INSA_ISC_SD_Lm4ESF_lEESJ_SD_Lm5ESF_lEElllll.num_vgpr, 17
	.set _ZN2at6native12_GLOBAL__N_127reflection_pad3d_out_kernelIN3c107complexIfEEEEvN5torch10headeronly6detail27GenericPackedTensorAccessorINS8_14TensorAccessorINS3_8ArrayRefIlEEKT_Lm4ENS7_16DefaultPtrTraitsElEENS_6detail16IndexBoundsCheckILm5ElEESE_Lm5ESF_lEENS9_INSA_ISC_SD_Lm4ESF_lEESJ_SD_Lm5ESF_lEElllll.num_agpr, 0
	.set _ZN2at6native12_GLOBAL__N_127reflection_pad3d_out_kernelIN3c107complexIfEEEEvN5torch10headeronly6detail27GenericPackedTensorAccessorINS8_14TensorAccessorINS3_8ArrayRefIlEEKT_Lm4ENS7_16DefaultPtrTraitsElEENS_6detail16IndexBoundsCheckILm5ElEESE_Lm5ESF_lEENS9_INSA_ISC_SD_Lm4ESF_lEESJ_SD_Lm5ESF_lEElllll.numbered_sgpr, 57
	.set _ZN2at6native12_GLOBAL__N_127reflection_pad3d_out_kernelIN3c107complexIfEEEEvN5torch10headeronly6detail27GenericPackedTensorAccessorINS8_14TensorAccessorINS3_8ArrayRefIlEEKT_Lm4ENS7_16DefaultPtrTraitsElEENS_6detail16IndexBoundsCheckILm5ElEESE_Lm5ESF_lEENS9_INSA_ISC_SD_Lm4ESF_lEESJ_SD_Lm5ESF_lEElllll.num_named_barrier, 0
	.set _ZN2at6native12_GLOBAL__N_127reflection_pad3d_out_kernelIN3c107complexIfEEEEvN5torch10headeronly6detail27GenericPackedTensorAccessorINS8_14TensorAccessorINS3_8ArrayRefIlEEKT_Lm4ENS7_16DefaultPtrTraitsElEENS_6detail16IndexBoundsCheckILm5ElEESE_Lm5ESF_lEENS9_INSA_ISC_SD_Lm4ESF_lEESJ_SD_Lm5ESF_lEElllll.private_seg_size, 0
	.set _ZN2at6native12_GLOBAL__N_127reflection_pad3d_out_kernelIN3c107complexIfEEEEvN5torch10headeronly6detail27GenericPackedTensorAccessorINS8_14TensorAccessorINS3_8ArrayRefIlEEKT_Lm4ENS7_16DefaultPtrTraitsElEENS_6detail16IndexBoundsCheckILm5ElEESE_Lm5ESF_lEENS9_INSA_ISC_SD_Lm4ESF_lEESJ_SD_Lm5ESF_lEElllll.uses_vcc, 1
	.set _ZN2at6native12_GLOBAL__N_127reflection_pad3d_out_kernelIN3c107complexIfEEEEvN5torch10headeronly6detail27GenericPackedTensorAccessorINS8_14TensorAccessorINS3_8ArrayRefIlEEKT_Lm4ENS7_16DefaultPtrTraitsElEENS_6detail16IndexBoundsCheckILm5ElEESE_Lm5ESF_lEENS9_INSA_ISC_SD_Lm4ESF_lEESJ_SD_Lm5ESF_lEElllll.uses_flat_scratch, 0
	.set _ZN2at6native12_GLOBAL__N_127reflection_pad3d_out_kernelIN3c107complexIfEEEEvN5torch10headeronly6detail27GenericPackedTensorAccessorINS8_14TensorAccessorINS3_8ArrayRefIlEEKT_Lm4ENS7_16DefaultPtrTraitsElEENS_6detail16IndexBoundsCheckILm5ElEESE_Lm5ESF_lEENS9_INSA_ISC_SD_Lm4ESF_lEESJ_SD_Lm5ESF_lEElllll.has_dyn_sized_stack, 0
	.set _ZN2at6native12_GLOBAL__N_127reflection_pad3d_out_kernelIN3c107complexIfEEEEvN5torch10headeronly6detail27GenericPackedTensorAccessorINS8_14TensorAccessorINS3_8ArrayRefIlEEKT_Lm4ENS7_16DefaultPtrTraitsElEENS_6detail16IndexBoundsCheckILm5ElEESE_Lm5ESF_lEENS9_INSA_ISC_SD_Lm4ESF_lEESJ_SD_Lm5ESF_lEElllll.has_recursion, 0
	.set _ZN2at6native12_GLOBAL__N_127reflection_pad3d_out_kernelIN3c107complexIfEEEEvN5torch10headeronly6detail27GenericPackedTensorAccessorINS8_14TensorAccessorINS3_8ArrayRefIlEEKT_Lm4ENS7_16DefaultPtrTraitsElEENS_6detail16IndexBoundsCheckILm5ElEESE_Lm5ESF_lEENS9_INSA_ISC_SD_Lm4ESF_lEESJ_SD_Lm5ESF_lEElllll.has_indirect_call, 0
	.section	.AMDGPU.csdata,"",@progbits
; Kernel info:
; codeLenInByte = 3652
; TotalNumSgprs: 63
; NumVgprs: 17
; NumAgprs: 0
; TotalNumVgprs: 17
; ScratchSize: 0
; MemoryBound: 0
; FloatMode: 240
; IeeeMode: 1
; LDSByteSize: 0 bytes/workgroup (compile time only)
; SGPRBlocks: 7
; VGPRBlocks: 2
; NumSGPRsForWavesPerEU: 63
; NumVGPRsForWavesPerEU: 17
; AccumOffset: 20
; Occupancy: 8
; WaveLimiterHint : 0
; COMPUTE_PGM_RSRC2:SCRATCH_EN: 0
; COMPUTE_PGM_RSRC2:USER_SGPR: 2
; COMPUTE_PGM_RSRC2:TRAP_HANDLER: 0
; COMPUTE_PGM_RSRC2:TGID_X_EN: 1
; COMPUTE_PGM_RSRC2:TGID_Y_EN: 1
; COMPUTE_PGM_RSRC2:TGID_Z_EN: 1
; COMPUTE_PGM_RSRC2:TIDIG_COMP_CNT: 0
; COMPUTE_PGM_RSRC3_GFX90A:ACCUM_OFFSET: 4
; COMPUTE_PGM_RSRC3_GFX90A:TG_SPLIT: 0
	.section	.text._ZN2at6native12_GLOBAL__N_127reflection_pad3d_out_kernelIN3c104HalfEEEvN5torch10headeronly6detail27GenericPackedTensorAccessorINS7_14TensorAccessorINS3_8ArrayRefIlEEKT_Lm4ENS6_16DefaultPtrTraitsElEENS_6detail16IndexBoundsCheckILm5ElEESD_Lm5ESE_lEENS8_INS9_ISB_SC_Lm4ESE_lEESI_SC_Lm5ESE_lEElllll,"axG",@progbits,_ZN2at6native12_GLOBAL__N_127reflection_pad3d_out_kernelIN3c104HalfEEEvN5torch10headeronly6detail27GenericPackedTensorAccessorINS7_14TensorAccessorINS3_8ArrayRefIlEEKT_Lm4ENS6_16DefaultPtrTraitsElEENS_6detail16IndexBoundsCheckILm5ElEESD_Lm5ESE_lEENS8_INS9_ISB_SC_Lm4ESE_lEESI_SC_Lm5ESE_lEElllll,comdat
	.globl	_ZN2at6native12_GLOBAL__N_127reflection_pad3d_out_kernelIN3c104HalfEEEvN5torch10headeronly6detail27GenericPackedTensorAccessorINS7_14TensorAccessorINS3_8ArrayRefIlEEKT_Lm4ENS6_16DefaultPtrTraitsElEENS_6detail16IndexBoundsCheckILm5ElEESD_Lm5ESE_lEENS8_INS9_ISB_SC_Lm4ESE_lEESI_SC_Lm5ESE_lEElllll ; -- Begin function _ZN2at6native12_GLOBAL__N_127reflection_pad3d_out_kernelIN3c104HalfEEEvN5torch10headeronly6detail27GenericPackedTensorAccessorINS7_14TensorAccessorINS3_8ArrayRefIlEEKT_Lm4ENS6_16DefaultPtrTraitsElEENS_6detail16IndexBoundsCheckILm5ElEESD_Lm5ESE_lEENS8_INS9_ISB_SC_Lm4ESE_lEESI_SC_Lm5ESE_lEElllll
	.p2align	8
	.type	_ZN2at6native12_GLOBAL__N_127reflection_pad3d_out_kernelIN3c104HalfEEEvN5torch10headeronly6detail27GenericPackedTensorAccessorINS7_14TensorAccessorINS3_8ArrayRefIlEEKT_Lm4ENS6_16DefaultPtrTraitsElEENS_6detail16IndexBoundsCheckILm5ElEESD_Lm5ESE_lEENS8_INS9_ISB_SC_Lm4ESE_lEESI_SC_Lm5ESE_lEElllll,@function
_ZN2at6native12_GLOBAL__N_127reflection_pad3d_out_kernelIN3c104HalfEEEvN5torch10headeronly6detail27GenericPackedTensorAccessorINS7_14TensorAccessorINS3_8ArrayRefIlEEKT_Lm4ENS6_16DefaultPtrTraitsElEENS_6detail16IndexBoundsCheckILm5ElEESD_Lm5ESE_lEENS8_INS9_ISB_SC_Lm4ESE_lEESI_SC_Lm5ESE_lEElllll: ; @_ZN2at6native12_GLOBAL__N_127reflection_pad3d_out_kernelIN3c104HalfEEEvN5torch10headeronly6detail27GenericPackedTensorAccessorINS7_14TensorAccessorINS3_8ArrayRefIlEEKT_Lm4ENS6_16DefaultPtrTraitsElEENS_6detail16IndexBoundsCheckILm5ElEESD_Lm5ESE_lEENS8_INS9_ISB_SC_Lm4ESE_lEESI_SC_Lm5ESE_lEElllll
; %bb.0:
	s_load_dword s5, s[0:1], 0xe4
	s_load_dwordx4 s[8:11], s[0:1], 0x70
	s_load_dwordx2 s[34:35], s[0:1], 0x80
	v_mov_b32_e32 v2, 0
	v_mov_b32_e32 v1, v2
	s_waitcnt lgkmcnt(0)
	s_and_b32 s5, s5, 0xffff
	v_mov_b32_e32 v3, s2
	v_mad_u64_u32 v[0:1], s[6:7], s5, v3, v[0:1]
	s_mul_i32 s2, s34, s11
	s_mul_hi_u32 s5, s34, s10
	s_add_i32 s5, s5, s2
	s_mul_i32 s2, s35, s10
	s_add_i32 s5, s5, s2
	s_mul_i32 s2, s34, s10
	s_mul_i32 s6, s2, s9
	s_mul_hi_u32 s7, s2, s8
	s_add_i32 s6, s7, s6
	s_mul_i32 s7, s5, s8
	s_add_i32 s7, s6, s7
	s_mul_i32 s6, s2, s8
	v_cmp_gt_i64_e32 vcc, s[6:7], v[0:1]
	s_and_saveexec_b64 s[6:7], vcc
	s_cbranch_execz .LBB66_14
; %bb.1:
	v_or_b32_e32 v3, s35, v1
	v_cmp_ne_u64_e32 vcc, 0, v[2:3]
	v_ashrrev_i32_e32 v2, 31, v1
                                        ; implicit-def: $vgpr6_vgpr7
	s_and_saveexec_b64 s[6:7], vcc
	s_xor_b64 s[8:9], exec, s[6:7]
	s_cbranch_execz .LBB66_3
; %bb.2:
	s_ashr_i32 s12, s35, 31
	s_add_u32 s6, s34, s12
	s_mov_b32 s13, s12
	s_addc_u32 s7, s35, s12
	s_xor_b64 s[14:15], s[6:7], s[12:13]
	v_cvt_f32_u32_e32 v3, s14
	v_cvt_f32_u32_e32 v4, s15
	s_sub_u32 s13, 0, s14
	s_subb_u32 s16, 0, s15
	v_mov_b32_e32 v7, 0
	v_fmamk_f32 v3, v4, 0x4f800000, v3
	v_rcp_f32_e32 v3, v3
	s_nop 0
	v_mul_f32_e32 v3, 0x5f7ffffc, v3
	v_mul_f32_e32 v4, 0x2f800000, v3
	v_trunc_f32_e32 v4, v4
	v_fmamk_f32 v3, v4, 0xcf800000, v3
	v_cvt_u32_f32_e32 v4, v4
	v_cvt_u32_f32_e32 v3, v3
	v_readfirstlane_b32 s17, v4
	v_readfirstlane_b32 s6, v3
	s_mul_i32 s7, s13, s17
	s_mul_hi_u32 s19, s13, s6
	s_mul_i32 s18, s16, s6
	s_add_i32 s7, s19, s7
	s_add_i32 s7, s7, s18
	s_mul_i32 s20, s13, s6
	s_mul_i32 s19, s6, s7
	s_mul_hi_u32 s21, s6, s20
	s_mul_hi_u32 s18, s6, s7
	s_add_u32 s19, s21, s19
	s_addc_u32 s18, 0, s18
	s_mul_hi_u32 s22, s17, s20
	s_mul_i32 s20, s17, s20
	s_add_u32 s19, s19, s20
	s_mul_hi_u32 s21, s17, s7
	s_addc_u32 s18, s18, s22
	s_addc_u32 s19, s21, 0
	s_mul_i32 s7, s17, s7
	s_add_u32 s7, s18, s7
	s_addc_u32 s18, 0, s19
	s_add_u32 s19, s6, s7
	s_cselect_b64 s[6:7], -1, 0
	s_cmp_lg_u64 s[6:7], 0
	s_addc_u32 s17, s17, s18
	s_mul_i32 s6, s13, s17
	s_mul_hi_u32 s7, s13, s19
	s_add_i32 s6, s7, s6
	s_mul_i32 s16, s16, s19
	s_add_i32 s6, s6, s16
	s_mul_i32 s13, s13, s19
	s_mul_hi_u32 s16, s17, s13
	s_mul_i32 s18, s17, s13
	s_mul_i32 s21, s19, s6
	s_mul_hi_u32 s13, s19, s13
	s_mul_hi_u32 s20, s19, s6
	s_add_u32 s13, s13, s21
	s_addc_u32 s20, 0, s20
	s_add_u32 s13, s13, s18
	s_mul_hi_u32 s7, s17, s6
	s_addc_u32 s13, s20, s16
	s_addc_u32 s7, s7, 0
	s_mul_i32 s6, s17, s6
	s_add_u32 s6, s13, s6
	s_addc_u32 s13, 0, s7
	s_add_u32 s16, s19, s6
	s_cselect_b64 s[6:7], -1, 0
	v_mov_b32_e32 v3, v2
	s_cmp_lg_u64 s[6:7], 0
	v_lshl_add_u64 v[4:5], v[0:1], 0, v[2:3]
	s_addc_u32 s13, s17, s13
	v_xor_b32_e32 v12, v4, v2
	v_xor_b32_e32 v3, v5, v2
	v_mad_u64_u32 v[4:5], s[6:7], v12, s13, 0
	v_mul_hi_u32 v6, v12, s16
	v_lshl_add_u64 v[4:5], v[6:7], 0, v[4:5]
	v_mad_u64_u32 v[10:11], s[6:7], v3, s16, 0
	v_add_co_u32_e32 v4, vcc, v4, v10
	v_mad_u64_u32 v[8:9], s[6:7], v3, s13, 0
	s_nop 0
	v_addc_co_u32_e32 v6, vcc, v5, v11, vcc
	s_nop 1
	v_addc_co_u32_e32 v9, vcc, 0, v9, vcc
	v_lshl_add_u64 v[4:5], v[6:7], 0, v[8:9]
	v_mul_lo_u32 v8, s15, v4
	v_mul_lo_u32 v9, s14, v5
	v_mad_u64_u32 v[6:7], s[6:7], s14, v4, 0
	v_add3_u32 v10, v7, v9, v8
	v_sub_u32_e32 v7, v3, v10
	v_mov_b32_e32 v8, s15
	v_sub_co_u32_e32 v11, vcc, v12, v6
	s_nop 1
	v_subb_co_u32_e64 v6, s[6:7], v7, v8, vcc
	v_subrev_co_u32_e64 v7, s[6:7], s14, v11
	v_subb_co_u32_e32 v3, vcc, v3, v10, vcc
	s_nop 0
	v_subbrev_co_u32_e64 v6, s[6:7], 0, v6, s[6:7]
	v_cmp_le_u32_e64 s[6:7], s15, v6
	v_cmp_le_u32_e32 vcc, s15, v3
	s_nop 0
	v_cndmask_b32_e64 v8, 0, -1, s[6:7]
	v_cmp_le_u32_e64 s[6:7], s14, v7
	s_nop 1
	v_cndmask_b32_e64 v7, 0, -1, s[6:7]
	v_cmp_eq_u32_e64 s[6:7], s15, v6
	s_nop 1
	v_cndmask_b32_e64 v12, v8, v7, s[6:7]
	v_lshl_add_u64 v[6:7], v[4:5], 0, 2
	v_lshl_add_u64 v[8:9], v[4:5], 0, 1
	v_cmp_ne_u32_e64 s[6:7], 0, v12
	s_nop 1
	v_cndmask_b32_e64 v7, v9, v7, s[6:7]
	v_cndmask_b32_e64 v9, 0, -1, vcc
	v_cmp_le_u32_e32 vcc, s14, v11
	s_nop 1
	v_cndmask_b32_e64 v10, 0, -1, vcc
	v_cmp_eq_u32_e32 vcc, s15, v3
	s_nop 1
	v_cndmask_b32_e32 v3, v9, v10, vcc
	v_cmp_ne_u32_e32 vcc, 0, v3
	s_nop 1
	v_cndmask_b32_e32 v3, v5, v7, vcc
	v_cndmask_b32_e64 v5, v8, v6, s[6:7]
	v_cndmask_b32_e32 v4, v4, v5, vcc
	v_xor_b32_e32 v5, s12, v2
	v_xor_b32_e32 v4, v4, v5
	;; [unrolled: 1-line block ×3, first 2 shown]
	v_sub_co_u32_e32 v6, vcc, v4, v5
	s_nop 1
	v_subb_co_u32_e32 v7, vcc, v3, v5, vcc
.LBB66_3:
	s_andn2_saveexec_b64 s[6:7], s[8:9]
	s_cbranch_execz .LBB66_5
; %bb.4:
	v_cvt_f32_u32_e32 v3, s34
	s_sub_i32 s8, 0, s34
	v_mov_b32_e32 v7, 0
	v_rcp_iflag_f32_e32 v3, v3
	s_nop 0
	v_mul_f32_e32 v3, 0x4f7ffffe, v3
	v_cvt_u32_f32_e32 v3, v3
	v_mul_lo_u32 v4, s8, v3
	v_mul_hi_u32 v4, v3, v4
	v_add_u32_e32 v3, v3, v4
	v_mul_hi_u32 v3, v0, v3
	v_mul_lo_u32 v4, v3, s34
	v_sub_u32_e32 v4, v0, v4
	v_add_u32_e32 v5, 1, v3
	v_subrev_u32_e32 v6, s34, v4
	v_cmp_le_u32_e32 vcc, s34, v4
	s_nop 1
	v_cndmask_b32_e32 v4, v4, v6, vcc
	v_cndmask_b32_e32 v3, v3, v5, vcc
	v_add_u32_e32 v5, 1, v3
	v_cmp_le_u32_e32 vcc, s34, v4
	s_nop 1
	v_cndmask_b32_e32 v6, v3, v5, vcc
.LBB66_5:
	s_or_b64 exec, exec, s[6:7]
	v_or_b32_e32 v9, s11, v7
	v_mov_b32_e32 v8, 0
	v_cmp_ne_u64_e32 vcc, 0, v[8:9]
                                        ; implicit-def: $vgpr4_vgpr5
	s_and_saveexec_b64 s[6:7], vcc
	s_xor_b64 s[12:13], exec, s[6:7]
	s_cbranch_execz .LBB66_7
; %bb.6:
	s_ashr_i32 s6, s11, 31
	s_add_u32 s8, s10, s6
	s_mov_b32 s7, s6
	s_addc_u32 s9, s11, s6
	s_xor_b64 s[14:15], s[8:9], s[6:7]
	v_cvt_f32_u32_e32 v3, s14
	v_cvt_f32_u32_e32 v4, s15
	s_sub_u32 s8, 0, s14
	s_subb_u32 s9, 0, s15
	v_ashrrev_i32_e32 v10, 31, v7
	v_fmamk_f32 v3, v4, 0x4f800000, v3
	v_rcp_f32_e32 v3, v3
	v_mov_b32_e32 v11, v10
	v_mov_b32_e32 v13, v8
	v_mul_f32_e32 v3, 0x5f7ffffc, v3
	v_mul_f32_e32 v4, 0x2f800000, v3
	v_trunc_f32_e32 v4, v4
	v_fmamk_f32 v3, v4, 0xcf800000, v3
	v_cvt_u32_f32_e32 v4, v4
	v_cvt_u32_f32_e32 v3, v3
	v_readfirstlane_b32 s11, v4
	v_readfirstlane_b32 s6, v3
	s_mul_i32 s7, s8, s11
	s_mul_hi_u32 s17, s8, s6
	s_mul_i32 s16, s9, s6
	s_add_i32 s7, s17, s7
	s_add_i32 s7, s7, s16
	s_mul_i32 s18, s8, s6
	s_mul_i32 s17, s6, s7
	s_mul_hi_u32 s19, s6, s18
	s_mul_hi_u32 s16, s6, s7
	s_add_u32 s17, s19, s17
	s_addc_u32 s16, 0, s16
	s_mul_hi_u32 s20, s11, s18
	s_mul_i32 s18, s11, s18
	s_add_u32 s17, s17, s18
	s_mul_hi_u32 s19, s11, s7
	s_addc_u32 s16, s16, s20
	s_addc_u32 s17, s19, 0
	s_mul_i32 s7, s11, s7
	s_add_u32 s7, s16, s7
	s_addc_u32 s16, 0, s17
	s_add_u32 s17, s6, s7
	s_cselect_b64 s[6:7], -1, 0
	s_cmp_lg_u64 s[6:7], 0
	s_addc_u32 s11, s11, s16
	s_mul_i32 s6, s8, s11
	s_mul_hi_u32 s7, s8, s17
	s_add_i32 s6, s7, s6
	s_mul_i32 s9, s9, s17
	s_add_i32 s6, s6, s9
	s_mul_i32 s8, s8, s17
	s_mul_hi_u32 s9, s11, s8
	s_mul_i32 s16, s11, s8
	s_mul_i32 s19, s17, s6
	s_mul_hi_u32 s8, s17, s8
	s_mul_hi_u32 s18, s17, s6
	s_add_u32 s8, s8, s19
	s_addc_u32 s18, 0, s18
	s_add_u32 s8, s8, s16
	s_mul_hi_u32 s7, s11, s6
	s_addc_u32 s8, s18, s9
	s_addc_u32 s7, s7, 0
	s_mul_i32 s6, s11, s6
	s_add_u32 s6, s8, s6
	s_addc_u32 s8, 0, s7
	s_add_u32 s9, s17, s6
	s_cselect_b64 s[6:7], -1, 0
	s_cmp_lg_u64 s[6:7], 0
	v_lshl_add_u64 v[4:5], v[6:7], 0, v[10:11]
	s_addc_u32 s8, s11, s8
	v_xor_b32_e32 v9, v4, v10
	v_xor_b32_e32 v3, v5, v10
	v_mad_u64_u32 v[4:5], s[6:7], v9, s8, 0
	v_mul_hi_u32 v12, v9, s9
	v_lshl_add_u64 v[4:5], v[12:13], 0, v[4:5]
	v_mad_u64_u32 v[14:15], s[6:7], v3, s9, 0
	v_add_co_u32_e32 v4, vcc, v4, v14
	v_mad_u64_u32 v[12:13], s[6:7], v3, s8, 0
	s_nop 0
	v_addc_co_u32_e32 v4, vcc, v5, v15, vcc
	v_mov_b32_e32 v5, v8
	s_nop 0
	v_addc_co_u32_e32 v13, vcc, 0, v13, vcc
	v_lshl_add_u64 v[4:5], v[4:5], 0, v[12:13]
	v_mul_lo_u32 v8, s15, v4
	v_mul_lo_u32 v11, s14, v5
	v_mad_u64_u32 v[4:5], s[6:7], s14, v4, 0
	v_add3_u32 v5, v5, v11, v8
	v_sub_u32_e32 v8, v3, v5
	v_mov_b32_e32 v11, s15
	v_sub_co_u32_e32 v4, vcc, v9, v4
	s_nop 1
	v_subb_co_u32_e64 v8, s[6:7], v8, v11, vcc
	v_subrev_co_u32_e64 v9, s[6:7], s14, v4
	v_subb_co_u32_e32 v3, vcc, v3, v5, vcc
	s_nop 0
	v_subbrev_co_u32_e64 v12, s[8:9], 0, v8, s[6:7]
	v_cmp_le_u32_e64 s[8:9], s15, v12
	v_subb_co_u32_e64 v8, s[6:7], v8, v11, s[6:7]
	s_nop 0
	v_cndmask_b32_e64 v13, 0, -1, s[8:9]
	v_cmp_le_u32_e64 s[8:9], s14, v9
	v_subrev_co_u32_e64 v11, s[6:7], s14, v9
	s_nop 0
	v_cndmask_b32_e64 v14, 0, -1, s[8:9]
	v_cmp_eq_u32_e64 s[8:9], s15, v12
	v_subbrev_co_u32_e64 v8, s[6:7], 0, v8, s[6:7]
	s_nop 0
	v_cndmask_b32_e64 v13, v13, v14, s[8:9]
	v_cmp_le_u32_e32 vcc, s15, v3
	v_cmp_ne_u32_e64 s[6:7], 0, v13
	s_nop 0
	v_cndmask_b32_e64 v5, 0, -1, vcc
	v_cmp_le_u32_e32 vcc, s14, v4
	v_cndmask_b32_e64 v8, v12, v8, s[6:7]
	s_nop 0
	v_cndmask_b32_e64 v12, 0, -1, vcc
	v_cmp_eq_u32_e32 vcc, s15, v3
	s_nop 1
	v_cndmask_b32_e32 v5, v5, v12, vcc
	v_cmp_ne_u32_e32 vcc, 0, v5
	v_cndmask_b32_e64 v5, v9, v11, s[6:7]
	s_nop 0
	v_cndmask_b32_e32 v4, v4, v5, vcc
	v_cndmask_b32_e32 v3, v3, v8, vcc
	v_xor_b32_e32 v4, v4, v10
	v_xor_b32_e32 v3, v3, v10
	v_sub_co_u32_e32 v4, vcc, v4, v10
	s_nop 1
	v_subb_co_u32_e32 v5, vcc, v3, v10, vcc
.LBB66_7:
	s_or_saveexec_b64 s[6:7], s[12:13]
	s_load_dwordx2 s[44:45], s[0:1], 0xa8
	s_load_dwordx8 s[24:31], s[0:1], 0x88
	s_xor_b64 exec, exec, s[6:7]
	s_cbranch_execz .LBB66_9
; %bb.8:
	v_cvt_f32_u32_e32 v3, s10
	s_sub_i32 s8, 0, s10
	v_mov_b32_e32 v5, 0
	v_rcp_iflag_f32_e32 v3, v3
	s_nop 0
	v_mul_f32_e32 v3, 0x4f7ffffe, v3
	v_cvt_u32_f32_e32 v3, v3
	v_mul_lo_u32 v4, s8, v3
	v_mul_hi_u32 v4, v3, v4
	v_add_u32_e32 v3, v3, v4
	v_mul_hi_u32 v3, v6, v3
	v_mul_lo_u32 v3, v3, s10
	v_sub_u32_e32 v3, v6, v3
	v_subrev_u32_e32 v4, s10, v3
	v_cmp_le_u32_e32 vcc, s10, v3
	s_nop 1
	v_cndmask_b32_e32 v3, v3, v4, vcc
	v_subrev_u32_e32 v4, s10, v3
	v_cmp_le_u32_e32 vcc, s10, v3
	s_nop 1
	v_cndmask_b32_e32 v4, v3, v4, vcc
.LBB66_9:
	s_or_b64 exec, exec, s[6:7]
	s_load_dwordx2 s[46:47], s[0:1], 0x58
	s_load_dwordx2 s[48:49], s[0:1], 0x0
	v_or_b32_e32 v11, s5, v1
	v_mov_b32_e32 v10, 0
	v_cmp_ne_u64_e32 vcc, 0, v[10:11]
                                        ; implicit-def: $vgpr8_vgpr9
	s_and_saveexec_b64 s[6:7], vcc
	s_xor_b64 s[8:9], exec, s[6:7]
	s_cbranch_execz .LBB66_11
; %bb.10:
	s_ashr_i32 s10, s5, 31
	s_add_u32 s6, s2, s10
	s_mov_b32 s11, s10
	s_addc_u32 s7, s5, s10
	s_xor_b64 s[12:13], s[6:7], s[10:11]
	v_cvt_f32_u32_e32 v3, s12
	v_cvt_f32_u32_e32 v8, s13
	s_sub_u32 s5, 0, s12
	s_subb_u32 s11, 0, s13
	v_mov_b32_e32 v13, v10
	v_fmamk_f32 v3, v8, 0x4f800000, v3
	v_rcp_f32_e32 v3, v3
	s_nop 0
	v_mul_f32_e32 v3, 0x5f7ffffc, v3
	v_mul_f32_e32 v8, 0x2f800000, v3
	v_trunc_f32_e32 v8, v8
	v_fmamk_f32 v3, v8, 0xcf800000, v3
	v_cvt_u32_f32_e32 v8, v8
	v_cvt_u32_f32_e32 v3, v3
	v_readfirstlane_b32 s14, v8
	v_readfirstlane_b32 s6, v3
	s_mul_i32 s7, s5, s14
	s_mul_hi_u32 s16, s5, s6
	s_mul_i32 s15, s11, s6
	s_add_i32 s7, s16, s7
	s_add_i32 s7, s7, s15
	s_mul_i32 s17, s5, s6
	s_mul_i32 s16, s6, s7
	s_mul_hi_u32 s18, s6, s17
	s_mul_hi_u32 s15, s6, s7
	s_add_u32 s16, s18, s16
	s_addc_u32 s15, 0, s15
	s_mul_hi_u32 s19, s14, s17
	s_mul_i32 s17, s14, s17
	s_add_u32 s16, s16, s17
	s_mul_hi_u32 s18, s14, s7
	s_addc_u32 s15, s15, s19
	s_addc_u32 s16, s18, 0
	s_mul_i32 s7, s14, s7
	s_add_u32 s7, s15, s7
	s_addc_u32 s15, 0, s16
	s_add_u32 s16, s6, s7
	s_cselect_b64 s[6:7], -1, 0
	s_cmp_lg_u64 s[6:7], 0
	s_addc_u32 s14, s14, s15
	s_mul_i32 s6, s5, s14
	s_mul_hi_u32 s7, s5, s16
	s_add_i32 s6, s7, s6
	s_mul_i32 s11, s11, s16
	s_add_i32 s6, s6, s11
	s_mul_i32 s5, s5, s16
	s_mul_hi_u32 s11, s14, s5
	s_mul_i32 s15, s14, s5
	s_mul_i32 s18, s16, s6
	s_mul_hi_u32 s5, s16, s5
	s_mul_hi_u32 s17, s16, s6
	s_add_u32 s5, s5, s18
	s_addc_u32 s17, 0, s17
	s_add_u32 s5, s5, s15
	s_mul_hi_u32 s7, s14, s6
	s_addc_u32 s5, s17, s11
	s_addc_u32 s7, s7, 0
	s_mul_i32 s6, s14, s6
	s_add_u32 s5, s5, s6
	s_addc_u32 s11, 0, s7
	s_add_u32 s5, s16, s5
	s_cselect_b64 s[6:7], -1, 0
	v_mov_b32_e32 v3, v2
	s_cmp_lg_u64 s[6:7], 0
	v_lshl_add_u64 v[8:9], v[0:1], 0, v[2:3]
	s_addc_u32 s11, s14, s11
	v_xor_b32_e32 v16, v8, v2
	v_xor_b32_e32 v3, v9, v2
	v_mad_u64_u32 v[8:9], s[6:7], v16, s11, 0
	v_mul_hi_u32 v12, v16, s5
	v_lshl_add_u64 v[8:9], v[12:13], 0, v[8:9]
	v_mad_u64_u32 v[14:15], s[6:7], v3, s5, 0
	v_add_co_u32_e32 v8, vcc, v8, v14
	v_mad_u64_u32 v[12:13], s[6:7], v3, s11, 0
	s_nop 0
	v_addc_co_u32_e32 v8, vcc, v9, v15, vcc
	v_mov_b32_e32 v9, v10
	s_nop 0
	v_addc_co_u32_e32 v13, vcc, 0, v13, vcc
	v_lshl_add_u64 v[8:9], v[8:9], 0, v[12:13]
	v_mul_lo_u32 v12, s13, v8
	v_mul_lo_u32 v13, s12, v9
	v_mad_u64_u32 v[10:11], s[6:7], s12, v8, 0
	v_add3_u32 v14, v11, v13, v12
	v_sub_u32_e32 v11, v3, v14
	v_mov_b32_e32 v12, s13
	v_sub_co_u32_e32 v15, vcc, v16, v10
	v_xor_b32_e32 v2, s10, v2
	s_nop 0
	v_subb_co_u32_e64 v10, s[6:7], v11, v12, vcc
	v_subrev_co_u32_e64 v11, s[6:7], s12, v15
	v_subb_co_u32_e32 v3, vcc, v3, v14, vcc
	s_nop 0
	v_subbrev_co_u32_e64 v10, s[6:7], 0, v10, s[6:7]
	v_cmp_le_u32_e64 s[6:7], s13, v10
	v_cmp_le_u32_e32 vcc, s13, v3
	s_nop 0
	v_cndmask_b32_e64 v12, 0, -1, s[6:7]
	v_cmp_le_u32_e64 s[6:7], s12, v11
	s_nop 1
	v_cndmask_b32_e64 v11, 0, -1, s[6:7]
	v_cmp_eq_u32_e64 s[6:7], s13, v10
	s_nop 1
	v_cndmask_b32_e64 v16, v12, v11, s[6:7]
	v_lshl_add_u64 v[10:11], v[8:9], 0, 2
	v_lshl_add_u64 v[12:13], v[8:9], 0, 1
	v_cmp_ne_u32_e64 s[6:7], 0, v16
	s_nop 1
	v_cndmask_b32_e64 v11, v13, v11, s[6:7]
	v_cndmask_b32_e64 v13, 0, -1, vcc
	v_cmp_le_u32_e32 vcc, s12, v15
	s_nop 1
	v_cndmask_b32_e64 v14, 0, -1, vcc
	v_cmp_eq_u32_e32 vcc, s13, v3
	s_nop 1
	v_cndmask_b32_e32 v3, v13, v14, vcc
	v_cmp_ne_u32_e32 vcc, 0, v3
	s_nop 1
	v_cndmask_b32_e32 v3, v9, v11, vcc
	v_cndmask_b32_e64 v9, v12, v10, s[6:7]
	v_cndmask_b32_e32 v8, v8, v9, vcc
	v_xor_b32_e32 v8, v8, v2
	v_xor_b32_e32 v3, v3, v2
	v_sub_co_u32_e32 v8, vcc, v8, v2
	s_nop 1
	v_subb_co_u32_e32 v9, vcc, v3, v2, vcc
.LBB66_11:
	s_or_saveexec_b64 s[6:7], s[8:9]
	s_load_dwordx16 s[8:23], s[0:1], 0x18
	s_xor_b64 exec, exec, s[6:7]
	s_cbranch_execz .LBB66_13
; %bb.12:
	v_cvt_f32_u32_e32 v2, s2
	s_sub_i32 s5, 0, s2
	v_rcp_iflag_f32_e32 v2, v2
	s_nop 0
	v_mul_f32_e32 v2, 0x4f7ffffe, v2
	v_cvt_u32_f32_e32 v2, v2
	v_mul_lo_u32 v3, s5, v2
	v_mul_hi_u32 v3, v2, v3
	v_add_u32_e32 v2, v2, v3
	v_mul_hi_u32 v2, v0, v2
	v_mul_lo_u32 v3, v2, s2
	v_sub_u32_e32 v3, v0, v3
	v_add_u32_e32 v8, 1, v2
	v_subrev_u32_e32 v9, s2, v3
	v_cmp_le_u32_e32 vcc, s2, v3
	s_nop 1
	v_cndmask_b32_e32 v3, v3, v9, vcc
	v_cndmask_b32_e32 v2, v2, v8, vcc
	v_add_u32_e32 v8, 1, v2
	v_cmp_le_u32_e32 vcc, s2, v3
	v_mov_b32_e32 v9, 0
	s_nop 0
	v_cndmask_b32_e32 v8, v2, v8, vcc
.LBB66_13:
	s_or_b64 exec, exec, s[6:7]
	s_load_dwordx8 s[36:43], s[0:1], 0xb0
	v_mad_u64_u32 v[2:3], s[6:7], v6, s34, 0
	v_mul_lo_u32 v7, v7, s34
	v_mul_lo_u32 v10, v6, s35
	s_waitcnt lgkmcnt(0)
	s_sub_u32 s6, 0, s36
	s_subb_u32 s7, 0, s37
	s_sub_u32 s34, 0, s38
	s_subb_u32 s35, 0, s39
	;; [unrolled: 2-line block ×3, first 2 shown]
	v_cmp_gt_i64_e64 s[52:53], s[6:7], 0
	s_and_b64 s[52:53], s[52:53], exec
	s_cselect_b32 s2, s7, 0
	s_cselect_b32 s5, s6, 0
	v_cmp_gt_i64_e64 s[6:7], s[36:37], 0
	s_and_b64 s[6:7], s[6:7], exec
	v_cmp_gt_i64_e64 s[6:7], s[34:35], 0
	s_cselect_b32 s53, s37, 0
	s_cselect_b32 s52, s36, 0
	s_and_b64 s[6:7], s[6:7], exec
	v_add3_u32 v3, v3, v10, v7
	v_sub_co_u32_e32 v0, vcc, v0, v2
	v_cmp_gt_i64_e64 s[6:7], s[38:39], 0
	s_nop 0
	v_subb_co_u32_e32 v1, vcc, v1, v3, vcc
	s_cselect_b32 s33, s35, 0
	s_cselect_b32 s54, s34, 0
	s_and_b64 s[6:7], s[6:7], exec
	v_cmp_gt_i64_e64 s[6:7], s[50:51], 0
	v_mov_b32_e32 v2, s37
	v_subrev_co_u32_e32 v3, vcc, s36, v0
	s_cselect_b32 s35, s39, 0
	s_cselect_b32 s34, s38, 0
	s_and_b64 s[6:7], s[6:7], exec
	v_subb_co_u32_e32 v2, vcc, v1, v2, vcc
	v_cmp_gt_i64_e64 s[6:7], s[40:41], 0
	v_ashrrev_i32_e32 v6, 31, v2
	s_cselect_b32 s55, s51, 0
	s_cselect_b32 s56, s50, 0
	s_and_b64 s[6:7], s[6:7], exec
	v_xor_b32_e32 v7, v2, v6
	v_xor_b32_e32 v2, v3, v6
	s_cselect_b32 s7, s41, 0
	s_cselect_b32 s6, s40, 0
	v_sub_co_u32_e32 v2, vcc, v2, v6
	s_add_u32 s50, s36, s12
	s_nop 0
	v_subb_co_u32_e32 v3, vcc, v7, v6, vcc
	s_addc_u32 s51, s37, s13
	v_mov_b32_e32 v7, s51
	v_subrev_co_u32_e32 v6, vcc, s50, v0
	s_lshl_b64 s[36:37], s[36:37], 1
	s_nop 0
	v_subb_co_u32_e32 v7, vcc, v1, v7, vcc
	s_not_b64 s[50:51], s[52:53]
	v_lshl_add_u64 v[6:7], v[6:7], 0, 1
	s_add_u32 s36, s36, s50
	v_ashrrev_i32_e32 v10, 31, v7
	s_addc_u32 s37, s37, s51
	v_xor_b32_e32 v6, v6, v10
	s_add_u32 s5, s36, s5
	v_xor_b32_e32 v7, v7, v10
	v_sub_co_u32_e32 v6, vcc, v6, v10
	s_addc_u32 s2, s37, s2
	s_nop 0
	v_subb_co_u32_e32 v7, vcc, v7, v10, vcc
	s_add_u32 s5, s5, s12
	s_addc_u32 s2, s2, s13
	v_lshl_add_u64 v[6:7], v[0:1], 0, v[6:7]
	v_mov_b32_e32 v10, s2
	v_sub_co_u32_e32 v6, vcc, s5, v6
	s_add_u32 s2, s38, s10
	s_nop 0
	v_subb_co_u32_e32 v7, vcc, v10, v7, vcc
	v_lshl_add_u64 v[2:3], v[6:7], 0, v[2:3]
	v_mov_b32_e32 v6, s39
	v_subrev_co_u32_e32 v7, vcc, s38, v4
	s_addc_u32 s5, s39, s11
	s_nop 0
	v_subb_co_u32_e32 v6, vcc, v5, v6, vcc
	v_ashrrev_i32_e32 v10, 31, v6
	v_xor_b32_e32 v11, v6, v10
	v_xor_b32_e32 v6, v7, v10
	v_sub_co_u32_e32 v6, vcc, v6, v10
	s_lshl_b64 s[12:13], s[38:39], 1
	s_nop 0
	v_subb_co_u32_e32 v7, vcc, v11, v10, vcc
	v_mov_b32_e32 v11, s5
	v_subrev_co_u32_e32 v10, vcc, s2, v4
	s_not_b64 s[34:35], s[34:35]
	s_nop 0
	v_subb_co_u32_e32 v11, vcc, v5, v11, vcc
	v_lshl_add_u64 v[10:11], v[10:11], 0, 1
	s_add_u32 s2, s12, s34
	v_ashrrev_i32_e32 v12, 31, v11
	s_addc_u32 s5, s13, s35
	v_xor_b32_e32 v10, v10, v12
	s_add_u32 s2, s2, s54
	v_xor_b32_e32 v11, v11, v12
	v_sub_co_u32_e32 v10, vcc, v10, v12
	s_addc_u32 s5, s5, s33
	s_nop 0
	v_subb_co_u32_e32 v11, vcc, v11, v12, vcc
	s_add_u32 s2, s2, s10
	s_addc_u32 s5, s5, s11
	v_lshl_add_u64 v[10:11], v[4:5], 0, v[10:11]
	v_mov_b32_e32 v12, s5
	v_sub_co_u32_e32 v10, vcc, s2, v10
	s_add_u32 s2, s40, s8
	s_nop 0
	v_subb_co_u32_e32 v11, vcc, v12, v11, vcc
	v_lshl_add_u64 v[6:7], v[10:11], 0, v[6:7]
	v_mov_b32_e32 v10, s41
	v_subrev_co_u32_e32 v11, vcc, s40, v8
	s_addc_u32 s5, s41, s9
	s_nop 0
	v_subb_co_u32_e32 v10, vcc, v9, v10, vcc
	v_ashrrev_i32_e32 v12, 31, v10
	v_xor_b32_e32 v13, v10, v12
	v_xor_b32_e32 v10, v11, v12
	v_sub_co_u32_e32 v10, vcc, v10, v12
	s_lshl_b64 s[10:11], s[40:41], 1
	s_nop 0
	v_subb_co_u32_e32 v11, vcc, v13, v12, vcc
	s_not_b64 s[6:7], s[6:7]
	v_mov_b32_e32 v13, s5
	v_subrev_co_u32_e32 v12, vcc, s2, v8
	s_add_u32 s2, s10, s6
	s_nop 0
	v_subb_co_u32_e32 v13, vcc, v9, v13, vcc
	s_addc_u32 s5, s11, s7
	v_lshl_add_u64 v[12:13], v[12:13], 0, 1
	s_add_u32 s2, s2, s56
	s_load_dwordx2 s[0:1], s[0:1], 0xd0
	v_ashrrev_i32_e32 v14, 31, v13
	s_addc_u32 s5, s5, s55
	v_xor_b32_e32 v12, v12, v14
	s_add_u32 s2, s2, s8
	v_xor_b32_e32 v13, v13, v14
	v_sub_co_u32_e32 v12, vcc, v12, v14
	s_addc_u32 s5, s5, s9
	s_nop 0
	v_subb_co_u32_e32 v13, vcc, v13, v14, vcc
	v_mov_b32_e32 v14, s5
	s_add_u32 s5, s42, s3
	s_addc_u32 s6, s43, 0
	s_waitcnt lgkmcnt(0)
	s_add_u32 s4, s0, s4
	s_addc_u32 s7, s1, 0
	s_mul_i32 s0, s14, s7
	s_mul_hi_u32 s1, s14, s4
	s_add_i32 s0, s1, s0
	s_mul_i32 s1, s15, s4
	s_add_i32 s1, s0, s1
	s_mul_i32 s0, s14, s4
	v_lshl_add_u64 v[12:13], v[8:9], 0, v[12:13]
	s_lshl_b64 s[0:1], s[0:1], 1
	v_sub_co_u32_e32 v12, vcc, s2, v12
	s_add_u32 s2, s48, s0
	s_addc_u32 s3, s49, s1
	s_mul_i32 s0, s16, s6
	s_mul_hi_u32 s1, s16, s5
	s_add_i32 s0, s1, s0
	s_mul_i32 s1, s17, s5
	s_add_i32 s1, s0, s1
	s_mul_i32 s0, s16, s5
	v_subb_co_u32_e32 v13, vcc, v14, v13, vcc
	s_lshl_b64 s[0:1], s[0:1], 1
	v_lshl_add_u64 v[10:11], v[12:13], 0, v[10:11]
	s_add_u32 s0, s2, s0
	s_addc_u32 s1, s3, s1
	v_mul_lo_u32 v12, v11, s18
	v_mul_lo_u32 v13, v10, s19
	v_mad_u64_u32 v[10:11], s[2:3], v10, s18, 0
	v_add3_u32 v11, v11, v13, v12
	v_lshl_add_u64 v[10:11], v[10:11], 1, s[0:1]
	v_mul_lo_u32 v12, v7, s20
	v_mul_lo_u32 v13, v6, s21
	v_mad_u64_u32 v[6:7], s[0:1], v6, s20, 0
	v_add3_u32 v7, v7, v13, v12
	v_lshl_add_u64 v[6:7], v[6:7], 1, v[10:11]
	;; [unrolled: 5-line block ×3, first 2 shown]
	global_load_ushort v6, v[2:3], off
	s_mul_i32 s0, s24, s7
	s_mul_hi_u32 s1, s24, s4
	s_add_i32 s0, s1, s0
	s_mul_i32 s1, s25, s4
	s_add_i32 s1, s0, s1
	s_mul_i32 s0, s24, s4
	s_lshl_b64 s[0:1], s[0:1], 1
	s_add_u32 s2, s46, s0
	s_addc_u32 s3, s47, s1
	s_mul_i32 s0, s26, s6
	s_mul_hi_u32 s1, s26, s5
	s_add_i32 s0, s1, s0
	s_mul_i32 s1, s27, s5
	s_add_i32 s1, s0, s1
	s_mul_i32 s0, s26, s5
	s_lshl_b64 s[0:1], s[0:1], 1
	s_add_u32 s0, s2, s0
	s_addc_u32 s1, s3, s1
	v_mul_lo_u32 v7, v9, s28
	v_mul_lo_u32 v9, v8, s29
	v_mad_u64_u32 v[2:3], s[2:3], v8, s28, 0
	v_add3_u32 v3, v3, v9, v7
	v_lshl_add_u64 v[2:3], v[2:3], 1, s[0:1]
	v_mul_lo_u32 v7, v5, s30
	v_mul_lo_u32 v8, v4, s31
	v_mad_u64_u32 v[4:5], s[0:1], v4, s30, 0
	v_add3_u32 v5, v5, v8, v7
	v_lshl_add_u64 v[2:3], v[4:5], 1, v[2:3]
	;; [unrolled: 5-line block ×3, first 2 shown]
	s_waitcnt vmcnt(0)
	global_store_short v[0:1], v6, off
.LBB66_14:
	s_endpgm
	.section	.rodata,"a",@progbits
	.p2align	6, 0x0
	.amdhsa_kernel _ZN2at6native12_GLOBAL__N_127reflection_pad3d_out_kernelIN3c104HalfEEEvN5torch10headeronly6detail27GenericPackedTensorAccessorINS7_14TensorAccessorINS3_8ArrayRefIlEEKT_Lm4ENS6_16DefaultPtrTraitsElEENS_6detail16IndexBoundsCheckILm5ElEESD_Lm5ESE_lEENS8_INS9_ISB_SC_Lm4ESE_lEESI_SC_Lm5ESE_lEElllll
		.amdhsa_group_segment_fixed_size 0
		.amdhsa_private_segment_fixed_size 0
		.amdhsa_kernarg_size 472
		.amdhsa_user_sgpr_count 2
		.amdhsa_user_sgpr_dispatch_ptr 0
		.amdhsa_user_sgpr_queue_ptr 0
		.amdhsa_user_sgpr_kernarg_segment_ptr 1
		.amdhsa_user_sgpr_dispatch_id 0
		.amdhsa_user_sgpr_kernarg_preload_length 0
		.amdhsa_user_sgpr_kernarg_preload_offset 0
		.amdhsa_user_sgpr_private_segment_size 0
		.amdhsa_uses_dynamic_stack 0
		.amdhsa_enable_private_segment 0
		.amdhsa_system_sgpr_workgroup_id_x 1
		.amdhsa_system_sgpr_workgroup_id_y 1
		.amdhsa_system_sgpr_workgroup_id_z 1
		.amdhsa_system_sgpr_workgroup_info 0
		.amdhsa_system_vgpr_workitem_id 0
		.amdhsa_next_free_vgpr 17
		.amdhsa_next_free_sgpr 57
		.amdhsa_accum_offset 20
		.amdhsa_reserve_vcc 1
		.amdhsa_float_round_mode_32 0
		.amdhsa_float_round_mode_16_64 0
		.amdhsa_float_denorm_mode_32 3
		.amdhsa_float_denorm_mode_16_64 3
		.amdhsa_dx10_clamp 1
		.amdhsa_ieee_mode 1
		.amdhsa_fp16_overflow 0
		.amdhsa_tg_split 0
		.amdhsa_exception_fp_ieee_invalid_op 0
		.amdhsa_exception_fp_denorm_src 0
		.amdhsa_exception_fp_ieee_div_zero 0
		.amdhsa_exception_fp_ieee_overflow 0
		.amdhsa_exception_fp_ieee_underflow 0
		.amdhsa_exception_fp_ieee_inexact 0
		.amdhsa_exception_int_div_zero 0
	.end_amdhsa_kernel
	.section	.text._ZN2at6native12_GLOBAL__N_127reflection_pad3d_out_kernelIN3c104HalfEEEvN5torch10headeronly6detail27GenericPackedTensorAccessorINS7_14TensorAccessorINS3_8ArrayRefIlEEKT_Lm4ENS6_16DefaultPtrTraitsElEENS_6detail16IndexBoundsCheckILm5ElEESD_Lm5ESE_lEENS8_INS9_ISB_SC_Lm4ESE_lEESI_SC_Lm5ESE_lEElllll,"axG",@progbits,_ZN2at6native12_GLOBAL__N_127reflection_pad3d_out_kernelIN3c104HalfEEEvN5torch10headeronly6detail27GenericPackedTensorAccessorINS7_14TensorAccessorINS3_8ArrayRefIlEEKT_Lm4ENS6_16DefaultPtrTraitsElEENS_6detail16IndexBoundsCheckILm5ElEESD_Lm5ESE_lEENS8_INS9_ISB_SC_Lm4ESE_lEESI_SC_Lm5ESE_lEElllll,comdat
.Lfunc_end66:
	.size	_ZN2at6native12_GLOBAL__N_127reflection_pad3d_out_kernelIN3c104HalfEEEvN5torch10headeronly6detail27GenericPackedTensorAccessorINS7_14TensorAccessorINS3_8ArrayRefIlEEKT_Lm4ENS6_16DefaultPtrTraitsElEENS_6detail16IndexBoundsCheckILm5ElEESD_Lm5ESE_lEENS8_INS9_ISB_SC_Lm4ESE_lEESI_SC_Lm5ESE_lEElllll, .Lfunc_end66-_ZN2at6native12_GLOBAL__N_127reflection_pad3d_out_kernelIN3c104HalfEEEvN5torch10headeronly6detail27GenericPackedTensorAccessorINS7_14TensorAccessorINS3_8ArrayRefIlEEKT_Lm4ENS6_16DefaultPtrTraitsElEENS_6detail16IndexBoundsCheckILm5ElEESD_Lm5ESE_lEENS8_INS9_ISB_SC_Lm4ESE_lEESI_SC_Lm5ESE_lEElllll
                                        ; -- End function
	.set _ZN2at6native12_GLOBAL__N_127reflection_pad3d_out_kernelIN3c104HalfEEEvN5torch10headeronly6detail27GenericPackedTensorAccessorINS7_14TensorAccessorINS3_8ArrayRefIlEEKT_Lm4ENS6_16DefaultPtrTraitsElEENS_6detail16IndexBoundsCheckILm5ElEESD_Lm5ESE_lEENS8_INS9_ISB_SC_Lm4ESE_lEESI_SC_Lm5ESE_lEElllll.num_vgpr, 17
	.set _ZN2at6native12_GLOBAL__N_127reflection_pad3d_out_kernelIN3c104HalfEEEvN5torch10headeronly6detail27GenericPackedTensorAccessorINS7_14TensorAccessorINS3_8ArrayRefIlEEKT_Lm4ENS6_16DefaultPtrTraitsElEENS_6detail16IndexBoundsCheckILm5ElEESD_Lm5ESE_lEENS8_INS9_ISB_SC_Lm4ESE_lEESI_SC_Lm5ESE_lEElllll.num_agpr, 0
	.set _ZN2at6native12_GLOBAL__N_127reflection_pad3d_out_kernelIN3c104HalfEEEvN5torch10headeronly6detail27GenericPackedTensorAccessorINS7_14TensorAccessorINS3_8ArrayRefIlEEKT_Lm4ENS6_16DefaultPtrTraitsElEENS_6detail16IndexBoundsCheckILm5ElEESD_Lm5ESE_lEENS8_INS9_ISB_SC_Lm4ESE_lEESI_SC_Lm5ESE_lEElllll.numbered_sgpr, 57
	.set _ZN2at6native12_GLOBAL__N_127reflection_pad3d_out_kernelIN3c104HalfEEEvN5torch10headeronly6detail27GenericPackedTensorAccessorINS7_14TensorAccessorINS3_8ArrayRefIlEEKT_Lm4ENS6_16DefaultPtrTraitsElEENS_6detail16IndexBoundsCheckILm5ElEESD_Lm5ESE_lEENS8_INS9_ISB_SC_Lm4ESE_lEESI_SC_Lm5ESE_lEElllll.num_named_barrier, 0
	.set _ZN2at6native12_GLOBAL__N_127reflection_pad3d_out_kernelIN3c104HalfEEEvN5torch10headeronly6detail27GenericPackedTensorAccessorINS7_14TensorAccessorINS3_8ArrayRefIlEEKT_Lm4ENS6_16DefaultPtrTraitsElEENS_6detail16IndexBoundsCheckILm5ElEESD_Lm5ESE_lEENS8_INS9_ISB_SC_Lm4ESE_lEESI_SC_Lm5ESE_lEElllll.private_seg_size, 0
	.set _ZN2at6native12_GLOBAL__N_127reflection_pad3d_out_kernelIN3c104HalfEEEvN5torch10headeronly6detail27GenericPackedTensorAccessorINS7_14TensorAccessorINS3_8ArrayRefIlEEKT_Lm4ENS6_16DefaultPtrTraitsElEENS_6detail16IndexBoundsCheckILm5ElEESD_Lm5ESE_lEENS8_INS9_ISB_SC_Lm4ESE_lEESI_SC_Lm5ESE_lEElllll.uses_vcc, 1
	.set _ZN2at6native12_GLOBAL__N_127reflection_pad3d_out_kernelIN3c104HalfEEEvN5torch10headeronly6detail27GenericPackedTensorAccessorINS7_14TensorAccessorINS3_8ArrayRefIlEEKT_Lm4ENS6_16DefaultPtrTraitsElEENS_6detail16IndexBoundsCheckILm5ElEESD_Lm5ESE_lEENS8_INS9_ISB_SC_Lm4ESE_lEESI_SC_Lm5ESE_lEElllll.uses_flat_scratch, 0
	.set _ZN2at6native12_GLOBAL__N_127reflection_pad3d_out_kernelIN3c104HalfEEEvN5torch10headeronly6detail27GenericPackedTensorAccessorINS7_14TensorAccessorINS3_8ArrayRefIlEEKT_Lm4ENS6_16DefaultPtrTraitsElEENS_6detail16IndexBoundsCheckILm5ElEESD_Lm5ESE_lEENS8_INS9_ISB_SC_Lm4ESE_lEESI_SC_Lm5ESE_lEElllll.has_dyn_sized_stack, 0
	.set _ZN2at6native12_GLOBAL__N_127reflection_pad3d_out_kernelIN3c104HalfEEEvN5torch10headeronly6detail27GenericPackedTensorAccessorINS7_14TensorAccessorINS3_8ArrayRefIlEEKT_Lm4ENS6_16DefaultPtrTraitsElEENS_6detail16IndexBoundsCheckILm5ElEESD_Lm5ESE_lEENS8_INS9_ISB_SC_Lm4ESE_lEESI_SC_Lm5ESE_lEElllll.has_recursion, 0
	.set _ZN2at6native12_GLOBAL__N_127reflection_pad3d_out_kernelIN3c104HalfEEEvN5torch10headeronly6detail27GenericPackedTensorAccessorINS7_14TensorAccessorINS3_8ArrayRefIlEEKT_Lm4ENS6_16DefaultPtrTraitsElEENS_6detail16IndexBoundsCheckILm5ElEESD_Lm5ESE_lEENS8_INS9_ISB_SC_Lm4ESE_lEESI_SC_Lm5ESE_lEElllll.has_indirect_call, 0
	.section	.AMDGPU.csdata,"",@progbits
; Kernel info:
; codeLenInByte = 3652
; TotalNumSgprs: 63
; NumVgprs: 17
; NumAgprs: 0
; TotalNumVgprs: 17
; ScratchSize: 0
; MemoryBound: 0
; FloatMode: 240
; IeeeMode: 1
; LDSByteSize: 0 bytes/workgroup (compile time only)
; SGPRBlocks: 7
; VGPRBlocks: 2
; NumSGPRsForWavesPerEU: 63
; NumVGPRsForWavesPerEU: 17
; AccumOffset: 20
; Occupancy: 8
; WaveLimiterHint : 0
; COMPUTE_PGM_RSRC2:SCRATCH_EN: 0
; COMPUTE_PGM_RSRC2:USER_SGPR: 2
; COMPUTE_PGM_RSRC2:TRAP_HANDLER: 0
; COMPUTE_PGM_RSRC2:TGID_X_EN: 1
; COMPUTE_PGM_RSRC2:TGID_Y_EN: 1
; COMPUTE_PGM_RSRC2:TGID_Z_EN: 1
; COMPUTE_PGM_RSRC2:TIDIG_COMP_CNT: 0
; COMPUTE_PGM_RSRC3_GFX90A:ACCUM_OFFSET: 4
; COMPUTE_PGM_RSRC3_GFX90A:TG_SPLIT: 0
	.section	.text._ZN2at6native12_GLOBAL__N_127reflection_pad3d_out_kernelIN3c108BFloat16EEEvN5torch10headeronly6detail27GenericPackedTensorAccessorINS7_14TensorAccessorINS3_8ArrayRefIlEEKT_Lm4ENS6_16DefaultPtrTraitsElEENS_6detail16IndexBoundsCheckILm5ElEESD_Lm5ESE_lEENS8_INS9_ISB_SC_Lm4ESE_lEESI_SC_Lm5ESE_lEElllll,"axG",@progbits,_ZN2at6native12_GLOBAL__N_127reflection_pad3d_out_kernelIN3c108BFloat16EEEvN5torch10headeronly6detail27GenericPackedTensorAccessorINS7_14TensorAccessorINS3_8ArrayRefIlEEKT_Lm4ENS6_16DefaultPtrTraitsElEENS_6detail16IndexBoundsCheckILm5ElEESD_Lm5ESE_lEENS8_INS9_ISB_SC_Lm4ESE_lEESI_SC_Lm5ESE_lEElllll,comdat
	.globl	_ZN2at6native12_GLOBAL__N_127reflection_pad3d_out_kernelIN3c108BFloat16EEEvN5torch10headeronly6detail27GenericPackedTensorAccessorINS7_14TensorAccessorINS3_8ArrayRefIlEEKT_Lm4ENS6_16DefaultPtrTraitsElEENS_6detail16IndexBoundsCheckILm5ElEESD_Lm5ESE_lEENS8_INS9_ISB_SC_Lm4ESE_lEESI_SC_Lm5ESE_lEElllll ; -- Begin function _ZN2at6native12_GLOBAL__N_127reflection_pad3d_out_kernelIN3c108BFloat16EEEvN5torch10headeronly6detail27GenericPackedTensorAccessorINS7_14TensorAccessorINS3_8ArrayRefIlEEKT_Lm4ENS6_16DefaultPtrTraitsElEENS_6detail16IndexBoundsCheckILm5ElEESD_Lm5ESE_lEENS8_INS9_ISB_SC_Lm4ESE_lEESI_SC_Lm5ESE_lEElllll
	.p2align	8
	.type	_ZN2at6native12_GLOBAL__N_127reflection_pad3d_out_kernelIN3c108BFloat16EEEvN5torch10headeronly6detail27GenericPackedTensorAccessorINS7_14TensorAccessorINS3_8ArrayRefIlEEKT_Lm4ENS6_16DefaultPtrTraitsElEENS_6detail16IndexBoundsCheckILm5ElEESD_Lm5ESE_lEENS8_INS9_ISB_SC_Lm4ESE_lEESI_SC_Lm5ESE_lEElllll,@function
_ZN2at6native12_GLOBAL__N_127reflection_pad3d_out_kernelIN3c108BFloat16EEEvN5torch10headeronly6detail27GenericPackedTensorAccessorINS7_14TensorAccessorINS3_8ArrayRefIlEEKT_Lm4ENS6_16DefaultPtrTraitsElEENS_6detail16IndexBoundsCheckILm5ElEESD_Lm5ESE_lEENS8_INS9_ISB_SC_Lm4ESE_lEESI_SC_Lm5ESE_lEElllll: ; @_ZN2at6native12_GLOBAL__N_127reflection_pad3d_out_kernelIN3c108BFloat16EEEvN5torch10headeronly6detail27GenericPackedTensorAccessorINS7_14TensorAccessorINS3_8ArrayRefIlEEKT_Lm4ENS6_16DefaultPtrTraitsElEENS_6detail16IndexBoundsCheckILm5ElEESD_Lm5ESE_lEENS8_INS9_ISB_SC_Lm4ESE_lEESI_SC_Lm5ESE_lEElllll
; %bb.0:
	s_load_dword s5, s[0:1], 0xe4
	s_load_dwordx4 s[8:11], s[0:1], 0x70
	s_load_dwordx2 s[34:35], s[0:1], 0x80
	v_mov_b32_e32 v2, 0
	v_mov_b32_e32 v1, v2
	s_waitcnt lgkmcnt(0)
	s_and_b32 s5, s5, 0xffff
	v_mov_b32_e32 v3, s2
	v_mad_u64_u32 v[0:1], s[6:7], s5, v3, v[0:1]
	s_mul_i32 s2, s34, s11
	s_mul_hi_u32 s5, s34, s10
	s_add_i32 s5, s5, s2
	s_mul_i32 s2, s35, s10
	s_add_i32 s5, s5, s2
	s_mul_i32 s2, s34, s10
	s_mul_i32 s6, s2, s9
	s_mul_hi_u32 s7, s2, s8
	s_add_i32 s6, s7, s6
	s_mul_i32 s7, s5, s8
	s_add_i32 s7, s6, s7
	s_mul_i32 s6, s2, s8
	v_cmp_gt_i64_e32 vcc, s[6:7], v[0:1]
	s_and_saveexec_b64 s[6:7], vcc
	s_cbranch_execz .LBB67_14
; %bb.1:
	v_or_b32_e32 v3, s35, v1
	v_cmp_ne_u64_e32 vcc, 0, v[2:3]
	v_ashrrev_i32_e32 v2, 31, v1
                                        ; implicit-def: $vgpr6_vgpr7
	s_and_saveexec_b64 s[6:7], vcc
	s_xor_b64 s[8:9], exec, s[6:7]
	s_cbranch_execz .LBB67_3
; %bb.2:
	s_ashr_i32 s12, s35, 31
	s_add_u32 s6, s34, s12
	s_mov_b32 s13, s12
	s_addc_u32 s7, s35, s12
	s_xor_b64 s[14:15], s[6:7], s[12:13]
	v_cvt_f32_u32_e32 v3, s14
	v_cvt_f32_u32_e32 v4, s15
	s_sub_u32 s13, 0, s14
	s_subb_u32 s16, 0, s15
	v_mov_b32_e32 v7, 0
	v_fmamk_f32 v3, v4, 0x4f800000, v3
	v_rcp_f32_e32 v3, v3
	s_nop 0
	v_mul_f32_e32 v3, 0x5f7ffffc, v3
	v_mul_f32_e32 v4, 0x2f800000, v3
	v_trunc_f32_e32 v4, v4
	v_fmamk_f32 v3, v4, 0xcf800000, v3
	v_cvt_u32_f32_e32 v4, v4
	v_cvt_u32_f32_e32 v3, v3
	v_readfirstlane_b32 s17, v4
	v_readfirstlane_b32 s6, v3
	s_mul_i32 s7, s13, s17
	s_mul_hi_u32 s19, s13, s6
	s_mul_i32 s18, s16, s6
	s_add_i32 s7, s19, s7
	s_add_i32 s7, s7, s18
	s_mul_i32 s20, s13, s6
	s_mul_i32 s19, s6, s7
	s_mul_hi_u32 s21, s6, s20
	s_mul_hi_u32 s18, s6, s7
	s_add_u32 s19, s21, s19
	s_addc_u32 s18, 0, s18
	s_mul_hi_u32 s22, s17, s20
	s_mul_i32 s20, s17, s20
	s_add_u32 s19, s19, s20
	s_mul_hi_u32 s21, s17, s7
	s_addc_u32 s18, s18, s22
	s_addc_u32 s19, s21, 0
	s_mul_i32 s7, s17, s7
	s_add_u32 s7, s18, s7
	s_addc_u32 s18, 0, s19
	s_add_u32 s19, s6, s7
	s_cselect_b64 s[6:7], -1, 0
	s_cmp_lg_u64 s[6:7], 0
	s_addc_u32 s17, s17, s18
	s_mul_i32 s6, s13, s17
	s_mul_hi_u32 s7, s13, s19
	s_add_i32 s6, s7, s6
	s_mul_i32 s16, s16, s19
	s_add_i32 s6, s6, s16
	s_mul_i32 s13, s13, s19
	s_mul_hi_u32 s16, s17, s13
	s_mul_i32 s18, s17, s13
	s_mul_i32 s21, s19, s6
	s_mul_hi_u32 s13, s19, s13
	s_mul_hi_u32 s20, s19, s6
	s_add_u32 s13, s13, s21
	s_addc_u32 s20, 0, s20
	s_add_u32 s13, s13, s18
	s_mul_hi_u32 s7, s17, s6
	s_addc_u32 s13, s20, s16
	s_addc_u32 s7, s7, 0
	s_mul_i32 s6, s17, s6
	s_add_u32 s6, s13, s6
	s_addc_u32 s13, 0, s7
	s_add_u32 s16, s19, s6
	s_cselect_b64 s[6:7], -1, 0
	v_mov_b32_e32 v3, v2
	s_cmp_lg_u64 s[6:7], 0
	v_lshl_add_u64 v[4:5], v[0:1], 0, v[2:3]
	s_addc_u32 s13, s17, s13
	v_xor_b32_e32 v12, v4, v2
	v_xor_b32_e32 v3, v5, v2
	v_mad_u64_u32 v[4:5], s[6:7], v12, s13, 0
	v_mul_hi_u32 v6, v12, s16
	v_lshl_add_u64 v[4:5], v[6:7], 0, v[4:5]
	v_mad_u64_u32 v[10:11], s[6:7], v3, s16, 0
	v_add_co_u32_e32 v4, vcc, v4, v10
	v_mad_u64_u32 v[8:9], s[6:7], v3, s13, 0
	s_nop 0
	v_addc_co_u32_e32 v6, vcc, v5, v11, vcc
	s_nop 1
	v_addc_co_u32_e32 v9, vcc, 0, v9, vcc
	v_lshl_add_u64 v[4:5], v[6:7], 0, v[8:9]
	v_mul_lo_u32 v8, s15, v4
	v_mul_lo_u32 v9, s14, v5
	v_mad_u64_u32 v[6:7], s[6:7], s14, v4, 0
	v_add3_u32 v10, v7, v9, v8
	v_sub_u32_e32 v7, v3, v10
	v_mov_b32_e32 v8, s15
	v_sub_co_u32_e32 v11, vcc, v12, v6
	s_nop 1
	v_subb_co_u32_e64 v6, s[6:7], v7, v8, vcc
	v_subrev_co_u32_e64 v7, s[6:7], s14, v11
	v_subb_co_u32_e32 v3, vcc, v3, v10, vcc
	s_nop 0
	v_subbrev_co_u32_e64 v6, s[6:7], 0, v6, s[6:7]
	v_cmp_le_u32_e64 s[6:7], s15, v6
	v_cmp_le_u32_e32 vcc, s15, v3
	s_nop 0
	v_cndmask_b32_e64 v8, 0, -1, s[6:7]
	v_cmp_le_u32_e64 s[6:7], s14, v7
	s_nop 1
	v_cndmask_b32_e64 v7, 0, -1, s[6:7]
	v_cmp_eq_u32_e64 s[6:7], s15, v6
	s_nop 1
	v_cndmask_b32_e64 v12, v8, v7, s[6:7]
	v_lshl_add_u64 v[6:7], v[4:5], 0, 2
	v_lshl_add_u64 v[8:9], v[4:5], 0, 1
	v_cmp_ne_u32_e64 s[6:7], 0, v12
	s_nop 1
	v_cndmask_b32_e64 v7, v9, v7, s[6:7]
	v_cndmask_b32_e64 v9, 0, -1, vcc
	v_cmp_le_u32_e32 vcc, s14, v11
	s_nop 1
	v_cndmask_b32_e64 v10, 0, -1, vcc
	v_cmp_eq_u32_e32 vcc, s15, v3
	s_nop 1
	v_cndmask_b32_e32 v3, v9, v10, vcc
	v_cmp_ne_u32_e32 vcc, 0, v3
	s_nop 1
	v_cndmask_b32_e32 v3, v5, v7, vcc
	v_cndmask_b32_e64 v5, v8, v6, s[6:7]
	v_cndmask_b32_e32 v4, v4, v5, vcc
	v_xor_b32_e32 v5, s12, v2
	v_xor_b32_e32 v4, v4, v5
	;; [unrolled: 1-line block ×3, first 2 shown]
	v_sub_co_u32_e32 v6, vcc, v4, v5
	s_nop 1
	v_subb_co_u32_e32 v7, vcc, v3, v5, vcc
.LBB67_3:
	s_andn2_saveexec_b64 s[6:7], s[8:9]
	s_cbranch_execz .LBB67_5
; %bb.4:
	v_cvt_f32_u32_e32 v3, s34
	s_sub_i32 s8, 0, s34
	v_mov_b32_e32 v7, 0
	v_rcp_iflag_f32_e32 v3, v3
	s_nop 0
	v_mul_f32_e32 v3, 0x4f7ffffe, v3
	v_cvt_u32_f32_e32 v3, v3
	v_mul_lo_u32 v4, s8, v3
	v_mul_hi_u32 v4, v3, v4
	v_add_u32_e32 v3, v3, v4
	v_mul_hi_u32 v3, v0, v3
	v_mul_lo_u32 v4, v3, s34
	v_sub_u32_e32 v4, v0, v4
	v_add_u32_e32 v5, 1, v3
	v_subrev_u32_e32 v6, s34, v4
	v_cmp_le_u32_e32 vcc, s34, v4
	s_nop 1
	v_cndmask_b32_e32 v4, v4, v6, vcc
	v_cndmask_b32_e32 v3, v3, v5, vcc
	v_add_u32_e32 v5, 1, v3
	v_cmp_le_u32_e32 vcc, s34, v4
	s_nop 1
	v_cndmask_b32_e32 v6, v3, v5, vcc
.LBB67_5:
	s_or_b64 exec, exec, s[6:7]
	v_or_b32_e32 v9, s11, v7
	v_mov_b32_e32 v8, 0
	v_cmp_ne_u64_e32 vcc, 0, v[8:9]
                                        ; implicit-def: $vgpr4_vgpr5
	s_and_saveexec_b64 s[6:7], vcc
	s_xor_b64 s[12:13], exec, s[6:7]
	s_cbranch_execz .LBB67_7
; %bb.6:
	s_ashr_i32 s6, s11, 31
	s_add_u32 s8, s10, s6
	s_mov_b32 s7, s6
	s_addc_u32 s9, s11, s6
	s_xor_b64 s[14:15], s[8:9], s[6:7]
	v_cvt_f32_u32_e32 v3, s14
	v_cvt_f32_u32_e32 v4, s15
	s_sub_u32 s8, 0, s14
	s_subb_u32 s9, 0, s15
	v_ashrrev_i32_e32 v10, 31, v7
	v_fmamk_f32 v3, v4, 0x4f800000, v3
	v_rcp_f32_e32 v3, v3
	v_mov_b32_e32 v11, v10
	v_mov_b32_e32 v13, v8
	v_mul_f32_e32 v3, 0x5f7ffffc, v3
	v_mul_f32_e32 v4, 0x2f800000, v3
	v_trunc_f32_e32 v4, v4
	v_fmamk_f32 v3, v4, 0xcf800000, v3
	v_cvt_u32_f32_e32 v4, v4
	v_cvt_u32_f32_e32 v3, v3
	v_readfirstlane_b32 s11, v4
	v_readfirstlane_b32 s6, v3
	s_mul_i32 s7, s8, s11
	s_mul_hi_u32 s17, s8, s6
	s_mul_i32 s16, s9, s6
	s_add_i32 s7, s17, s7
	s_add_i32 s7, s7, s16
	s_mul_i32 s18, s8, s6
	s_mul_i32 s17, s6, s7
	s_mul_hi_u32 s19, s6, s18
	s_mul_hi_u32 s16, s6, s7
	s_add_u32 s17, s19, s17
	s_addc_u32 s16, 0, s16
	s_mul_hi_u32 s20, s11, s18
	s_mul_i32 s18, s11, s18
	s_add_u32 s17, s17, s18
	s_mul_hi_u32 s19, s11, s7
	s_addc_u32 s16, s16, s20
	s_addc_u32 s17, s19, 0
	s_mul_i32 s7, s11, s7
	s_add_u32 s7, s16, s7
	s_addc_u32 s16, 0, s17
	s_add_u32 s17, s6, s7
	s_cselect_b64 s[6:7], -1, 0
	s_cmp_lg_u64 s[6:7], 0
	s_addc_u32 s11, s11, s16
	s_mul_i32 s6, s8, s11
	s_mul_hi_u32 s7, s8, s17
	s_add_i32 s6, s7, s6
	s_mul_i32 s9, s9, s17
	s_add_i32 s6, s6, s9
	s_mul_i32 s8, s8, s17
	s_mul_hi_u32 s9, s11, s8
	s_mul_i32 s16, s11, s8
	s_mul_i32 s19, s17, s6
	s_mul_hi_u32 s8, s17, s8
	s_mul_hi_u32 s18, s17, s6
	s_add_u32 s8, s8, s19
	s_addc_u32 s18, 0, s18
	s_add_u32 s8, s8, s16
	s_mul_hi_u32 s7, s11, s6
	s_addc_u32 s8, s18, s9
	s_addc_u32 s7, s7, 0
	s_mul_i32 s6, s11, s6
	s_add_u32 s6, s8, s6
	s_addc_u32 s8, 0, s7
	s_add_u32 s9, s17, s6
	s_cselect_b64 s[6:7], -1, 0
	s_cmp_lg_u64 s[6:7], 0
	v_lshl_add_u64 v[4:5], v[6:7], 0, v[10:11]
	s_addc_u32 s8, s11, s8
	v_xor_b32_e32 v9, v4, v10
	v_xor_b32_e32 v3, v5, v10
	v_mad_u64_u32 v[4:5], s[6:7], v9, s8, 0
	v_mul_hi_u32 v12, v9, s9
	v_lshl_add_u64 v[4:5], v[12:13], 0, v[4:5]
	v_mad_u64_u32 v[14:15], s[6:7], v3, s9, 0
	v_add_co_u32_e32 v4, vcc, v4, v14
	v_mad_u64_u32 v[12:13], s[6:7], v3, s8, 0
	s_nop 0
	v_addc_co_u32_e32 v4, vcc, v5, v15, vcc
	v_mov_b32_e32 v5, v8
	s_nop 0
	v_addc_co_u32_e32 v13, vcc, 0, v13, vcc
	v_lshl_add_u64 v[4:5], v[4:5], 0, v[12:13]
	v_mul_lo_u32 v8, s15, v4
	v_mul_lo_u32 v11, s14, v5
	v_mad_u64_u32 v[4:5], s[6:7], s14, v4, 0
	v_add3_u32 v5, v5, v11, v8
	v_sub_u32_e32 v8, v3, v5
	v_mov_b32_e32 v11, s15
	v_sub_co_u32_e32 v4, vcc, v9, v4
	s_nop 1
	v_subb_co_u32_e64 v8, s[6:7], v8, v11, vcc
	v_subrev_co_u32_e64 v9, s[6:7], s14, v4
	v_subb_co_u32_e32 v3, vcc, v3, v5, vcc
	s_nop 0
	v_subbrev_co_u32_e64 v12, s[8:9], 0, v8, s[6:7]
	v_cmp_le_u32_e64 s[8:9], s15, v12
	v_subb_co_u32_e64 v8, s[6:7], v8, v11, s[6:7]
	s_nop 0
	v_cndmask_b32_e64 v13, 0, -1, s[8:9]
	v_cmp_le_u32_e64 s[8:9], s14, v9
	v_subrev_co_u32_e64 v11, s[6:7], s14, v9
	s_nop 0
	v_cndmask_b32_e64 v14, 0, -1, s[8:9]
	v_cmp_eq_u32_e64 s[8:9], s15, v12
	v_subbrev_co_u32_e64 v8, s[6:7], 0, v8, s[6:7]
	s_nop 0
	v_cndmask_b32_e64 v13, v13, v14, s[8:9]
	v_cmp_le_u32_e32 vcc, s15, v3
	v_cmp_ne_u32_e64 s[6:7], 0, v13
	s_nop 0
	v_cndmask_b32_e64 v5, 0, -1, vcc
	v_cmp_le_u32_e32 vcc, s14, v4
	v_cndmask_b32_e64 v8, v12, v8, s[6:7]
	s_nop 0
	v_cndmask_b32_e64 v12, 0, -1, vcc
	v_cmp_eq_u32_e32 vcc, s15, v3
	s_nop 1
	v_cndmask_b32_e32 v5, v5, v12, vcc
	v_cmp_ne_u32_e32 vcc, 0, v5
	v_cndmask_b32_e64 v5, v9, v11, s[6:7]
	s_nop 0
	v_cndmask_b32_e32 v4, v4, v5, vcc
	v_cndmask_b32_e32 v3, v3, v8, vcc
	v_xor_b32_e32 v4, v4, v10
	v_xor_b32_e32 v3, v3, v10
	v_sub_co_u32_e32 v4, vcc, v4, v10
	s_nop 1
	v_subb_co_u32_e32 v5, vcc, v3, v10, vcc
.LBB67_7:
	s_or_saveexec_b64 s[6:7], s[12:13]
	s_load_dwordx2 s[44:45], s[0:1], 0xa8
	s_load_dwordx8 s[24:31], s[0:1], 0x88
	s_xor_b64 exec, exec, s[6:7]
	s_cbranch_execz .LBB67_9
; %bb.8:
	v_cvt_f32_u32_e32 v3, s10
	s_sub_i32 s8, 0, s10
	v_mov_b32_e32 v5, 0
	v_rcp_iflag_f32_e32 v3, v3
	s_nop 0
	v_mul_f32_e32 v3, 0x4f7ffffe, v3
	v_cvt_u32_f32_e32 v3, v3
	v_mul_lo_u32 v4, s8, v3
	v_mul_hi_u32 v4, v3, v4
	v_add_u32_e32 v3, v3, v4
	v_mul_hi_u32 v3, v6, v3
	v_mul_lo_u32 v3, v3, s10
	v_sub_u32_e32 v3, v6, v3
	v_subrev_u32_e32 v4, s10, v3
	v_cmp_le_u32_e32 vcc, s10, v3
	s_nop 1
	v_cndmask_b32_e32 v3, v3, v4, vcc
	v_subrev_u32_e32 v4, s10, v3
	v_cmp_le_u32_e32 vcc, s10, v3
	s_nop 1
	v_cndmask_b32_e32 v4, v3, v4, vcc
.LBB67_9:
	s_or_b64 exec, exec, s[6:7]
	s_load_dwordx2 s[46:47], s[0:1], 0x58
	s_load_dwordx2 s[48:49], s[0:1], 0x0
	v_or_b32_e32 v11, s5, v1
	v_mov_b32_e32 v10, 0
	v_cmp_ne_u64_e32 vcc, 0, v[10:11]
                                        ; implicit-def: $vgpr8_vgpr9
	s_and_saveexec_b64 s[6:7], vcc
	s_xor_b64 s[8:9], exec, s[6:7]
	s_cbranch_execz .LBB67_11
; %bb.10:
	s_ashr_i32 s10, s5, 31
	s_add_u32 s6, s2, s10
	s_mov_b32 s11, s10
	s_addc_u32 s7, s5, s10
	s_xor_b64 s[12:13], s[6:7], s[10:11]
	v_cvt_f32_u32_e32 v3, s12
	v_cvt_f32_u32_e32 v8, s13
	s_sub_u32 s5, 0, s12
	s_subb_u32 s11, 0, s13
	v_mov_b32_e32 v13, v10
	v_fmamk_f32 v3, v8, 0x4f800000, v3
	v_rcp_f32_e32 v3, v3
	s_nop 0
	v_mul_f32_e32 v3, 0x5f7ffffc, v3
	v_mul_f32_e32 v8, 0x2f800000, v3
	v_trunc_f32_e32 v8, v8
	v_fmamk_f32 v3, v8, 0xcf800000, v3
	v_cvt_u32_f32_e32 v8, v8
	v_cvt_u32_f32_e32 v3, v3
	v_readfirstlane_b32 s14, v8
	v_readfirstlane_b32 s6, v3
	s_mul_i32 s7, s5, s14
	s_mul_hi_u32 s16, s5, s6
	s_mul_i32 s15, s11, s6
	s_add_i32 s7, s16, s7
	s_add_i32 s7, s7, s15
	s_mul_i32 s17, s5, s6
	s_mul_i32 s16, s6, s7
	s_mul_hi_u32 s18, s6, s17
	s_mul_hi_u32 s15, s6, s7
	s_add_u32 s16, s18, s16
	s_addc_u32 s15, 0, s15
	s_mul_hi_u32 s19, s14, s17
	s_mul_i32 s17, s14, s17
	s_add_u32 s16, s16, s17
	s_mul_hi_u32 s18, s14, s7
	s_addc_u32 s15, s15, s19
	s_addc_u32 s16, s18, 0
	s_mul_i32 s7, s14, s7
	s_add_u32 s7, s15, s7
	s_addc_u32 s15, 0, s16
	s_add_u32 s16, s6, s7
	s_cselect_b64 s[6:7], -1, 0
	s_cmp_lg_u64 s[6:7], 0
	s_addc_u32 s14, s14, s15
	s_mul_i32 s6, s5, s14
	s_mul_hi_u32 s7, s5, s16
	s_add_i32 s6, s7, s6
	s_mul_i32 s11, s11, s16
	s_add_i32 s6, s6, s11
	s_mul_i32 s5, s5, s16
	s_mul_hi_u32 s11, s14, s5
	s_mul_i32 s15, s14, s5
	s_mul_i32 s18, s16, s6
	s_mul_hi_u32 s5, s16, s5
	s_mul_hi_u32 s17, s16, s6
	s_add_u32 s5, s5, s18
	s_addc_u32 s17, 0, s17
	s_add_u32 s5, s5, s15
	s_mul_hi_u32 s7, s14, s6
	s_addc_u32 s5, s17, s11
	s_addc_u32 s7, s7, 0
	s_mul_i32 s6, s14, s6
	s_add_u32 s5, s5, s6
	s_addc_u32 s11, 0, s7
	s_add_u32 s5, s16, s5
	s_cselect_b64 s[6:7], -1, 0
	v_mov_b32_e32 v3, v2
	s_cmp_lg_u64 s[6:7], 0
	v_lshl_add_u64 v[8:9], v[0:1], 0, v[2:3]
	s_addc_u32 s11, s14, s11
	v_xor_b32_e32 v16, v8, v2
	v_xor_b32_e32 v3, v9, v2
	v_mad_u64_u32 v[8:9], s[6:7], v16, s11, 0
	v_mul_hi_u32 v12, v16, s5
	v_lshl_add_u64 v[8:9], v[12:13], 0, v[8:9]
	v_mad_u64_u32 v[14:15], s[6:7], v3, s5, 0
	v_add_co_u32_e32 v8, vcc, v8, v14
	v_mad_u64_u32 v[12:13], s[6:7], v3, s11, 0
	s_nop 0
	v_addc_co_u32_e32 v8, vcc, v9, v15, vcc
	v_mov_b32_e32 v9, v10
	s_nop 0
	v_addc_co_u32_e32 v13, vcc, 0, v13, vcc
	v_lshl_add_u64 v[8:9], v[8:9], 0, v[12:13]
	v_mul_lo_u32 v12, s13, v8
	v_mul_lo_u32 v13, s12, v9
	v_mad_u64_u32 v[10:11], s[6:7], s12, v8, 0
	v_add3_u32 v14, v11, v13, v12
	v_sub_u32_e32 v11, v3, v14
	v_mov_b32_e32 v12, s13
	v_sub_co_u32_e32 v15, vcc, v16, v10
	v_xor_b32_e32 v2, s10, v2
	s_nop 0
	v_subb_co_u32_e64 v10, s[6:7], v11, v12, vcc
	v_subrev_co_u32_e64 v11, s[6:7], s12, v15
	v_subb_co_u32_e32 v3, vcc, v3, v14, vcc
	s_nop 0
	v_subbrev_co_u32_e64 v10, s[6:7], 0, v10, s[6:7]
	v_cmp_le_u32_e64 s[6:7], s13, v10
	v_cmp_le_u32_e32 vcc, s13, v3
	s_nop 0
	v_cndmask_b32_e64 v12, 0, -1, s[6:7]
	v_cmp_le_u32_e64 s[6:7], s12, v11
	s_nop 1
	v_cndmask_b32_e64 v11, 0, -1, s[6:7]
	v_cmp_eq_u32_e64 s[6:7], s13, v10
	s_nop 1
	v_cndmask_b32_e64 v16, v12, v11, s[6:7]
	v_lshl_add_u64 v[10:11], v[8:9], 0, 2
	v_lshl_add_u64 v[12:13], v[8:9], 0, 1
	v_cmp_ne_u32_e64 s[6:7], 0, v16
	s_nop 1
	v_cndmask_b32_e64 v11, v13, v11, s[6:7]
	v_cndmask_b32_e64 v13, 0, -1, vcc
	v_cmp_le_u32_e32 vcc, s12, v15
	s_nop 1
	v_cndmask_b32_e64 v14, 0, -1, vcc
	v_cmp_eq_u32_e32 vcc, s13, v3
	s_nop 1
	v_cndmask_b32_e32 v3, v13, v14, vcc
	v_cmp_ne_u32_e32 vcc, 0, v3
	s_nop 1
	v_cndmask_b32_e32 v3, v9, v11, vcc
	v_cndmask_b32_e64 v9, v12, v10, s[6:7]
	v_cndmask_b32_e32 v8, v8, v9, vcc
	v_xor_b32_e32 v8, v8, v2
	v_xor_b32_e32 v3, v3, v2
	v_sub_co_u32_e32 v8, vcc, v8, v2
	s_nop 1
	v_subb_co_u32_e32 v9, vcc, v3, v2, vcc
.LBB67_11:
	s_or_saveexec_b64 s[6:7], s[8:9]
	s_load_dwordx16 s[8:23], s[0:1], 0x18
	s_xor_b64 exec, exec, s[6:7]
	s_cbranch_execz .LBB67_13
; %bb.12:
	v_cvt_f32_u32_e32 v2, s2
	s_sub_i32 s5, 0, s2
	v_rcp_iflag_f32_e32 v2, v2
	s_nop 0
	v_mul_f32_e32 v2, 0x4f7ffffe, v2
	v_cvt_u32_f32_e32 v2, v2
	v_mul_lo_u32 v3, s5, v2
	v_mul_hi_u32 v3, v2, v3
	v_add_u32_e32 v2, v2, v3
	v_mul_hi_u32 v2, v0, v2
	v_mul_lo_u32 v3, v2, s2
	v_sub_u32_e32 v3, v0, v3
	v_add_u32_e32 v8, 1, v2
	v_subrev_u32_e32 v9, s2, v3
	v_cmp_le_u32_e32 vcc, s2, v3
	s_nop 1
	v_cndmask_b32_e32 v3, v3, v9, vcc
	v_cndmask_b32_e32 v2, v2, v8, vcc
	v_add_u32_e32 v8, 1, v2
	v_cmp_le_u32_e32 vcc, s2, v3
	v_mov_b32_e32 v9, 0
	s_nop 0
	v_cndmask_b32_e32 v8, v2, v8, vcc
.LBB67_13:
	s_or_b64 exec, exec, s[6:7]
	s_load_dwordx8 s[36:43], s[0:1], 0xb0
	v_mad_u64_u32 v[2:3], s[6:7], v6, s34, 0
	v_mul_lo_u32 v7, v7, s34
	v_mul_lo_u32 v10, v6, s35
	s_waitcnt lgkmcnt(0)
	s_sub_u32 s6, 0, s36
	s_subb_u32 s7, 0, s37
	s_sub_u32 s34, 0, s38
	s_subb_u32 s35, 0, s39
	;; [unrolled: 2-line block ×3, first 2 shown]
	v_cmp_gt_i64_e64 s[52:53], s[6:7], 0
	s_and_b64 s[52:53], s[52:53], exec
	s_cselect_b32 s2, s7, 0
	s_cselect_b32 s5, s6, 0
	v_cmp_gt_i64_e64 s[6:7], s[36:37], 0
	s_and_b64 s[6:7], s[6:7], exec
	v_cmp_gt_i64_e64 s[6:7], s[34:35], 0
	s_cselect_b32 s53, s37, 0
	s_cselect_b32 s52, s36, 0
	s_and_b64 s[6:7], s[6:7], exec
	v_add3_u32 v3, v3, v10, v7
	v_sub_co_u32_e32 v0, vcc, v0, v2
	v_cmp_gt_i64_e64 s[6:7], s[38:39], 0
	s_nop 0
	v_subb_co_u32_e32 v1, vcc, v1, v3, vcc
	s_cselect_b32 s33, s35, 0
	s_cselect_b32 s54, s34, 0
	s_and_b64 s[6:7], s[6:7], exec
	v_cmp_gt_i64_e64 s[6:7], s[50:51], 0
	v_mov_b32_e32 v2, s37
	v_subrev_co_u32_e32 v3, vcc, s36, v0
	s_cselect_b32 s35, s39, 0
	s_cselect_b32 s34, s38, 0
	s_and_b64 s[6:7], s[6:7], exec
	v_subb_co_u32_e32 v2, vcc, v1, v2, vcc
	v_cmp_gt_i64_e64 s[6:7], s[40:41], 0
	v_ashrrev_i32_e32 v6, 31, v2
	s_cselect_b32 s55, s51, 0
	s_cselect_b32 s56, s50, 0
	s_and_b64 s[6:7], s[6:7], exec
	v_xor_b32_e32 v7, v2, v6
	v_xor_b32_e32 v2, v3, v6
	s_cselect_b32 s7, s41, 0
	s_cselect_b32 s6, s40, 0
	v_sub_co_u32_e32 v2, vcc, v2, v6
	s_add_u32 s50, s36, s12
	s_nop 0
	v_subb_co_u32_e32 v3, vcc, v7, v6, vcc
	s_addc_u32 s51, s37, s13
	v_mov_b32_e32 v7, s51
	v_subrev_co_u32_e32 v6, vcc, s50, v0
	s_lshl_b64 s[36:37], s[36:37], 1
	s_nop 0
	v_subb_co_u32_e32 v7, vcc, v1, v7, vcc
	s_not_b64 s[50:51], s[52:53]
	v_lshl_add_u64 v[6:7], v[6:7], 0, 1
	s_add_u32 s36, s36, s50
	v_ashrrev_i32_e32 v10, 31, v7
	s_addc_u32 s37, s37, s51
	v_xor_b32_e32 v6, v6, v10
	s_add_u32 s5, s36, s5
	v_xor_b32_e32 v7, v7, v10
	v_sub_co_u32_e32 v6, vcc, v6, v10
	s_addc_u32 s2, s37, s2
	s_nop 0
	v_subb_co_u32_e32 v7, vcc, v7, v10, vcc
	s_add_u32 s5, s5, s12
	s_addc_u32 s2, s2, s13
	v_lshl_add_u64 v[6:7], v[0:1], 0, v[6:7]
	v_mov_b32_e32 v10, s2
	v_sub_co_u32_e32 v6, vcc, s5, v6
	s_add_u32 s2, s38, s10
	s_nop 0
	v_subb_co_u32_e32 v7, vcc, v10, v7, vcc
	v_lshl_add_u64 v[2:3], v[6:7], 0, v[2:3]
	v_mov_b32_e32 v6, s39
	v_subrev_co_u32_e32 v7, vcc, s38, v4
	s_addc_u32 s5, s39, s11
	s_nop 0
	v_subb_co_u32_e32 v6, vcc, v5, v6, vcc
	v_ashrrev_i32_e32 v10, 31, v6
	v_xor_b32_e32 v11, v6, v10
	v_xor_b32_e32 v6, v7, v10
	v_sub_co_u32_e32 v6, vcc, v6, v10
	s_lshl_b64 s[12:13], s[38:39], 1
	s_nop 0
	v_subb_co_u32_e32 v7, vcc, v11, v10, vcc
	v_mov_b32_e32 v11, s5
	v_subrev_co_u32_e32 v10, vcc, s2, v4
	s_not_b64 s[34:35], s[34:35]
	s_nop 0
	v_subb_co_u32_e32 v11, vcc, v5, v11, vcc
	v_lshl_add_u64 v[10:11], v[10:11], 0, 1
	s_add_u32 s2, s12, s34
	v_ashrrev_i32_e32 v12, 31, v11
	s_addc_u32 s5, s13, s35
	v_xor_b32_e32 v10, v10, v12
	s_add_u32 s2, s2, s54
	v_xor_b32_e32 v11, v11, v12
	v_sub_co_u32_e32 v10, vcc, v10, v12
	s_addc_u32 s5, s5, s33
	s_nop 0
	v_subb_co_u32_e32 v11, vcc, v11, v12, vcc
	s_add_u32 s2, s2, s10
	s_addc_u32 s5, s5, s11
	v_lshl_add_u64 v[10:11], v[4:5], 0, v[10:11]
	v_mov_b32_e32 v12, s5
	v_sub_co_u32_e32 v10, vcc, s2, v10
	s_add_u32 s2, s40, s8
	s_nop 0
	v_subb_co_u32_e32 v11, vcc, v12, v11, vcc
	v_lshl_add_u64 v[6:7], v[10:11], 0, v[6:7]
	v_mov_b32_e32 v10, s41
	v_subrev_co_u32_e32 v11, vcc, s40, v8
	s_addc_u32 s5, s41, s9
	s_nop 0
	v_subb_co_u32_e32 v10, vcc, v9, v10, vcc
	v_ashrrev_i32_e32 v12, 31, v10
	v_xor_b32_e32 v13, v10, v12
	v_xor_b32_e32 v10, v11, v12
	v_sub_co_u32_e32 v10, vcc, v10, v12
	s_lshl_b64 s[10:11], s[40:41], 1
	s_nop 0
	v_subb_co_u32_e32 v11, vcc, v13, v12, vcc
	s_not_b64 s[6:7], s[6:7]
	v_mov_b32_e32 v13, s5
	v_subrev_co_u32_e32 v12, vcc, s2, v8
	s_add_u32 s2, s10, s6
	s_nop 0
	v_subb_co_u32_e32 v13, vcc, v9, v13, vcc
	s_addc_u32 s5, s11, s7
	v_lshl_add_u64 v[12:13], v[12:13], 0, 1
	s_add_u32 s2, s2, s56
	s_load_dwordx2 s[0:1], s[0:1], 0xd0
	v_ashrrev_i32_e32 v14, 31, v13
	s_addc_u32 s5, s5, s55
	v_xor_b32_e32 v12, v12, v14
	s_add_u32 s2, s2, s8
	v_xor_b32_e32 v13, v13, v14
	v_sub_co_u32_e32 v12, vcc, v12, v14
	s_addc_u32 s5, s5, s9
	s_nop 0
	v_subb_co_u32_e32 v13, vcc, v13, v14, vcc
	v_mov_b32_e32 v14, s5
	s_add_u32 s5, s42, s3
	s_addc_u32 s6, s43, 0
	s_waitcnt lgkmcnt(0)
	s_add_u32 s4, s0, s4
	s_addc_u32 s7, s1, 0
	s_mul_i32 s0, s14, s7
	s_mul_hi_u32 s1, s14, s4
	s_add_i32 s0, s1, s0
	s_mul_i32 s1, s15, s4
	s_add_i32 s1, s0, s1
	s_mul_i32 s0, s14, s4
	v_lshl_add_u64 v[12:13], v[8:9], 0, v[12:13]
	s_lshl_b64 s[0:1], s[0:1], 1
	v_sub_co_u32_e32 v12, vcc, s2, v12
	s_add_u32 s2, s48, s0
	s_addc_u32 s3, s49, s1
	s_mul_i32 s0, s16, s6
	s_mul_hi_u32 s1, s16, s5
	s_add_i32 s0, s1, s0
	s_mul_i32 s1, s17, s5
	s_add_i32 s1, s0, s1
	s_mul_i32 s0, s16, s5
	v_subb_co_u32_e32 v13, vcc, v14, v13, vcc
	s_lshl_b64 s[0:1], s[0:1], 1
	v_lshl_add_u64 v[10:11], v[12:13], 0, v[10:11]
	s_add_u32 s0, s2, s0
	s_addc_u32 s1, s3, s1
	v_mul_lo_u32 v12, v11, s18
	v_mul_lo_u32 v13, v10, s19
	v_mad_u64_u32 v[10:11], s[2:3], v10, s18, 0
	v_add3_u32 v11, v11, v13, v12
	v_lshl_add_u64 v[10:11], v[10:11], 1, s[0:1]
	v_mul_lo_u32 v12, v7, s20
	v_mul_lo_u32 v13, v6, s21
	v_mad_u64_u32 v[6:7], s[0:1], v6, s20, 0
	v_add3_u32 v7, v7, v13, v12
	v_lshl_add_u64 v[6:7], v[6:7], 1, v[10:11]
	;; [unrolled: 5-line block ×3, first 2 shown]
	global_load_ushort v6, v[2:3], off
	s_mul_i32 s0, s24, s7
	s_mul_hi_u32 s1, s24, s4
	s_add_i32 s0, s1, s0
	s_mul_i32 s1, s25, s4
	s_add_i32 s1, s0, s1
	s_mul_i32 s0, s24, s4
	s_lshl_b64 s[0:1], s[0:1], 1
	s_add_u32 s2, s46, s0
	s_addc_u32 s3, s47, s1
	s_mul_i32 s0, s26, s6
	s_mul_hi_u32 s1, s26, s5
	s_add_i32 s0, s1, s0
	s_mul_i32 s1, s27, s5
	s_add_i32 s1, s0, s1
	s_mul_i32 s0, s26, s5
	s_lshl_b64 s[0:1], s[0:1], 1
	s_add_u32 s0, s2, s0
	s_addc_u32 s1, s3, s1
	v_mul_lo_u32 v7, v9, s28
	v_mul_lo_u32 v9, v8, s29
	v_mad_u64_u32 v[2:3], s[2:3], v8, s28, 0
	v_add3_u32 v3, v3, v9, v7
	v_lshl_add_u64 v[2:3], v[2:3], 1, s[0:1]
	v_mul_lo_u32 v7, v5, s30
	v_mul_lo_u32 v8, v4, s31
	v_mad_u64_u32 v[4:5], s[0:1], v4, s30, 0
	v_add3_u32 v5, v5, v8, v7
	v_lshl_add_u64 v[2:3], v[4:5], 1, v[2:3]
	;; [unrolled: 5-line block ×3, first 2 shown]
	s_waitcnt vmcnt(0)
	global_store_short v[0:1], v6, off
.LBB67_14:
	s_endpgm
	.section	.rodata,"a",@progbits
	.p2align	6, 0x0
	.amdhsa_kernel _ZN2at6native12_GLOBAL__N_127reflection_pad3d_out_kernelIN3c108BFloat16EEEvN5torch10headeronly6detail27GenericPackedTensorAccessorINS7_14TensorAccessorINS3_8ArrayRefIlEEKT_Lm4ENS6_16DefaultPtrTraitsElEENS_6detail16IndexBoundsCheckILm5ElEESD_Lm5ESE_lEENS8_INS9_ISB_SC_Lm4ESE_lEESI_SC_Lm5ESE_lEElllll
		.amdhsa_group_segment_fixed_size 0
		.amdhsa_private_segment_fixed_size 0
		.amdhsa_kernarg_size 472
		.amdhsa_user_sgpr_count 2
		.amdhsa_user_sgpr_dispatch_ptr 0
		.amdhsa_user_sgpr_queue_ptr 0
		.amdhsa_user_sgpr_kernarg_segment_ptr 1
		.amdhsa_user_sgpr_dispatch_id 0
		.amdhsa_user_sgpr_kernarg_preload_length 0
		.amdhsa_user_sgpr_kernarg_preload_offset 0
		.amdhsa_user_sgpr_private_segment_size 0
		.amdhsa_uses_dynamic_stack 0
		.amdhsa_enable_private_segment 0
		.amdhsa_system_sgpr_workgroup_id_x 1
		.amdhsa_system_sgpr_workgroup_id_y 1
		.amdhsa_system_sgpr_workgroup_id_z 1
		.amdhsa_system_sgpr_workgroup_info 0
		.amdhsa_system_vgpr_workitem_id 0
		.amdhsa_next_free_vgpr 17
		.amdhsa_next_free_sgpr 57
		.amdhsa_accum_offset 20
		.amdhsa_reserve_vcc 1
		.amdhsa_float_round_mode_32 0
		.amdhsa_float_round_mode_16_64 0
		.amdhsa_float_denorm_mode_32 3
		.amdhsa_float_denorm_mode_16_64 3
		.amdhsa_dx10_clamp 1
		.amdhsa_ieee_mode 1
		.amdhsa_fp16_overflow 0
		.amdhsa_tg_split 0
		.amdhsa_exception_fp_ieee_invalid_op 0
		.amdhsa_exception_fp_denorm_src 0
		.amdhsa_exception_fp_ieee_div_zero 0
		.amdhsa_exception_fp_ieee_overflow 0
		.amdhsa_exception_fp_ieee_underflow 0
		.amdhsa_exception_fp_ieee_inexact 0
		.amdhsa_exception_int_div_zero 0
	.end_amdhsa_kernel
	.section	.text._ZN2at6native12_GLOBAL__N_127reflection_pad3d_out_kernelIN3c108BFloat16EEEvN5torch10headeronly6detail27GenericPackedTensorAccessorINS7_14TensorAccessorINS3_8ArrayRefIlEEKT_Lm4ENS6_16DefaultPtrTraitsElEENS_6detail16IndexBoundsCheckILm5ElEESD_Lm5ESE_lEENS8_INS9_ISB_SC_Lm4ESE_lEESI_SC_Lm5ESE_lEElllll,"axG",@progbits,_ZN2at6native12_GLOBAL__N_127reflection_pad3d_out_kernelIN3c108BFloat16EEEvN5torch10headeronly6detail27GenericPackedTensorAccessorINS7_14TensorAccessorINS3_8ArrayRefIlEEKT_Lm4ENS6_16DefaultPtrTraitsElEENS_6detail16IndexBoundsCheckILm5ElEESD_Lm5ESE_lEENS8_INS9_ISB_SC_Lm4ESE_lEESI_SC_Lm5ESE_lEElllll,comdat
.Lfunc_end67:
	.size	_ZN2at6native12_GLOBAL__N_127reflection_pad3d_out_kernelIN3c108BFloat16EEEvN5torch10headeronly6detail27GenericPackedTensorAccessorINS7_14TensorAccessorINS3_8ArrayRefIlEEKT_Lm4ENS6_16DefaultPtrTraitsElEENS_6detail16IndexBoundsCheckILm5ElEESD_Lm5ESE_lEENS8_INS9_ISB_SC_Lm4ESE_lEESI_SC_Lm5ESE_lEElllll, .Lfunc_end67-_ZN2at6native12_GLOBAL__N_127reflection_pad3d_out_kernelIN3c108BFloat16EEEvN5torch10headeronly6detail27GenericPackedTensorAccessorINS7_14TensorAccessorINS3_8ArrayRefIlEEKT_Lm4ENS6_16DefaultPtrTraitsElEENS_6detail16IndexBoundsCheckILm5ElEESD_Lm5ESE_lEENS8_INS9_ISB_SC_Lm4ESE_lEESI_SC_Lm5ESE_lEElllll
                                        ; -- End function
	.set _ZN2at6native12_GLOBAL__N_127reflection_pad3d_out_kernelIN3c108BFloat16EEEvN5torch10headeronly6detail27GenericPackedTensorAccessorINS7_14TensorAccessorINS3_8ArrayRefIlEEKT_Lm4ENS6_16DefaultPtrTraitsElEENS_6detail16IndexBoundsCheckILm5ElEESD_Lm5ESE_lEENS8_INS9_ISB_SC_Lm4ESE_lEESI_SC_Lm5ESE_lEElllll.num_vgpr, 17
	.set _ZN2at6native12_GLOBAL__N_127reflection_pad3d_out_kernelIN3c108BFloat16EEEvN5torch10headeronly6detail27GenericPackedTensorAccessorINS7_14TensorAccessorINS3_8ArrayRefIlEEKT_Lm4ENS6_16DefaultPtrTraitsElEENS_6detail16IndexBoundsCheckILm5ElEESD_Lm5ESE_lEENS8_INS9_ISB_SC_Lm4ESE_lEESI_SC_Lm5ESE_lEElllll.num_agpr, 0
	.set _ZN2at6native12_GLOBAL__N_127reflection_pad3d_out_kernelIN3c108BFloat16EEEvN5torch10headeronly6detail27GenericPackedTensorAccessorINS7_14TensorAccessorINS3_8ArrayRefIlEEKT_Lm4ENS6_16DefaultPtrTraitsElEENS_6detail16IndexBoundsCheckILm5ElEESD_Lm5ESE_lEENS8_INS9_ISB_SC_Lm4ESE_lEESI_SC_Lm5ESE_lEElllll.numbered_sgpr, 57
	.set _ZN2at6native12_GLOBAL__N_127reflection_pad3d_out_kernelIN3c108BFloat16EEEvN5torch10headeronly6detail27GenericPackedTensorAccessorINS7_14TensorAccessorINS3_8ArrayRefIlEEKT_Lm4ENS6_16DefaultPtrTraitsElEENS_6detail16IndexBoundsCheckILm5ElEESD_Lm5ESE_lEENS8_INS9_ISB_SC_Lm4ESE_lEESI_SC_Lm5ESE_lEElllll.num_named_barrier, 0
	.set _ZN2at6native12_GLOBAL__N_127reflection_pad3d_out_kernelIN3c108BFloat16EEEvN5torch10headeronly6detail27GenericPackedTensorAccessorINS7_14TensorAccessorINS3_8ArrayRefIlEEKT_Lm4ENS6_16DefaultPtrTraitsElEENS_6detail16IndexBoundsCheckILm5ElEESD_Lm5ESE_lEENS8_INS9_ISB_SC_Lm4ESE_lEESI_SC_Lm5ESE_lEElllll.private_seg_size, 0
	.set _ZN2at6native12_GLOBAL__N_127reflection_pad3d_out_kernelIN3c108BFloat16EEEvN5torch10headeronly6detail27GenericPackedTensorAccessorINS7_14TensorAccessorINS3_8ArrayRefIlEEKT_Lm4ENS6_16DefaultPtrTraitsElEENS_6detail16IndexBoundsCheckILm5ElEESD_Lm5ESE_lEENS8_INS9_ISB_SC_Lm4ESE_lEESI_SC_Lm5ESE_lEElllll.uses_vcc, 1
	.set _ZN2at6native12_GLOBAL__N_127reflection_pad3d_out_kernelIN3c108BFloat16EEEvN5torch10headeronly6detail27GenericPackedTensorAccessorINS7_14TensorAccessorINS3_8ArrayRefIlEEKT_Lm4ENS6_16DefaultPtrTraitsElEENS_6detail16IndexBoundsCheckILm5ElEESD_Lm5ESE_lEENS8_INS9_ISB_SC_Lm4ESE_lEESI_SC_Lm5ESE_lEElllll.uses_flat_scratch, 0
	.set _ZN2at6native12_GLOBAL__N_127reflection_pad3d_out_kernelIN3c108BFloat16EEEvN5torch10headeronly6detail27GenericPackedTensorAccessorINS7_14TensorAccessorINS3_8ArrayRefIlEEKT_Lm4ENS6_16DefaultPtrTraitsElEENS_6detail16IndexBoundsCheckILm5ElEESD_Lm5ESE_lEENS8_INS9_ISB_SC_Lm4ESE_lEESI_SC_Lm5ESE_lEElllll.has_dyn_sized_stack, 0
	.set _ZN2at6native12_GLOBAL__N_127reflection_pad3d_out_kernelIN3c108BFloat16EEEvN5torch10headeronly6detail27GenericPackedTensorAccessorINS7_14TensorAccessorINS3_8ArrayRefIlEEKT_Lm4ENS6_16DefaultPtrTraitsElEENS_6detail16IndexBoundsCheckILm5ElEESD_Lm5ESE_lEENS8_INS9_ISB_SC_Lm4ESE_lEESI_SC_Lm5ESE_lEElllll.has_recursion, 0
	.set _ZN2at6native12_GLOBAL__N_127reflection_pad3d_out_kernelIN3c108BFloat16EEEvN5torch10headeronly6detail27GenericPackedTensorAccessorINS7_14TensorAccessorINS3_8ArrayRefIlEEKT_Lm4ENS6_16DefaultPtrTraitsElEENS_6detail16IndexBoundsCheckILm5ElEESD_Lm5ESE_lEENS8_INS9_ISB_SC_Lm4ESE_lEESI_SC_Lm5ESE_lEElllll.has_indirect_call, 0
	.section	.AMDGPU.csdata,"",@progbits
; Kernel info:
; codeLenInByte = 3652
; TotalNumSgprs: 63
; NumVgprs: 17
; NumAgprs: 0
; TotalNumVgprs: 17
; ScratchSize: 0
; MemoryBound: 0
; FloatMode: 240
; IeeeMode: 1
; LDSByteSize: 0 bytes/workgroup (compile time only)
; SGPRBlocks: 7
; VGPRBlocks: 2
; NumSGPRsForWavesPerEU: 63
; NumVGPRsForWavesPerEU: 17
; AccumOffset: 20
; Occupancy: 8
; WaveLimiterHint : 0
; COMPUTE_PGM_RSRC2:SCRATCH_EN: 0
; COMPUTE_PGM_RSRC2:USER_SGPR: 2
; COMPUTE_PGM_RSRC2:TRAP_HANDLER: 0
; COMPUTE_PGM_RSRC2:TGID_X_EN: 1
; COMPUTE_PGM_RSRC2:TGID_Y_EN: 1
; COMPUTE_PGM_RSRC2:TGID_Z_EN: 1
; COMPUTE_PGM_RSRC2:TIDIG_COMP_CNT: 0
; COMPUTE_PGM_RSRC3_GFX90A:ACCUM_OFFSET: 4
; COMPUTE_PGM_RSRC3_GFX90A:TG_SPLIT: 0
	.section	.text._ZN2at6native12_GLOBAL__N_136reflection_pad3d_backward_out_kernelIdEEvN5torch10headeronly6detail27GenericPackedTensorAccessorINS5_14TensorAccessorIN3c108ArrayRefIlEET_Lm4ENS4_16DefaultPtrTraitsElEENS_6detail16IndexBoundsCheckILm5ElEESB_Lm5ESC_lEENS6_INS7_ISA_KSB_Lm4ESC_lEESG_SI_Lm5ESC_lEElllll,"axG",@progbits,_ZN2at6native12_GLOBAL__N_136reflection_pad3d_backward_out_kernelIdEEvN5torch10headeronly6detail27GenericPackedTensorAccessorINS5_14TensorAccessorIN3c108ArrayRefIlEET_Lm4ENS4_16DefaultPtrTraitsElEENS_6detail16IndexBoundsCheckILm5ElEESB_Lm5ESC_lEENS6_INS7_ISA_KSB_Lm4ESC_lEESG_SI_Lm5ESC_lEElllll,comdat
	.globl	_ZN2at6native12_GLOBAL__N_136reflection_pad3d_backward_out_kernelIdEEvN5torch10headeronly6detail27GenericPackedTensorAccessorINS5_14TensorAccessorIN3c108ArrayRefIlEET_Lm4ENS4_16DefaultPtrTraitsElEENS_6detail16IndexBoundsCheckILm5ElEESB_Lm5ESC_lEENS6_INS7_ISA_KSB_Lm4ESC_lEESG_SI_Lm5ESC_lEElllll ; -- Begin function _ZN2at6native12_GLOBAL__N_136reflection_pad3d_backward_out_kernelIdEEvN5torch10headeronly6detail27GenericPackedTensorAccessorINS5_14TensorAccessorIN3c108ArrayRefIlEET_Lm4ENS4_16DefaultPtrTraitsElEENS_6detail16IndexBoundsCheckILm5ElEESB_Lm5ESC_lEENS6_INS7_ISA_KSB_Lm4ESC_lEESG_SI_Lm5ESC_lEElllll
	.p2align	8
	.type	_ZN2at6native12_GLOBAL__N_136reflection_pad3d_backward_out_kernelIdEEvN5torch10headeronly6detail27GenericPackedTensorAccessorINS5_14TensorAccessorIN3c108ArrayRefIlEET_Lm4ENS4_16DefaultPtrTraitsElEENS_6detail16IndexBoundsCheckILm5ElEESB_Lm5ESC_lEENS6_INS7_ISA_KSB_Lm4ESC_lEESG_SI_Lm5ESC_lEElllll,@function
_ZN2at6native12_GLOBAL__N_136reflection_pad3d_backward_out_kernelIdEEvN5torch10headeronly6detail27GenericPackedTensorAccessorINS5_14TensorAccessorIN3c108ArrayRefIlEET_Lm4ENS4_16DefaultPtrTraitsElEENS_6detail16IndexBoundsCheckILm5ElEESB_Lm5ESC_lEENS6_INS7_ISA_KSB_Lm4ESC_lEESG_SI_Lm5ESC_lEElllll: ; @_ZN2at6native12_GLOBAL__N_136reflection_pad3d_backward_out_kernelIdEEvN5torch10headeronly6detail27GenericPackedTensorAccessorINS5_14TensorAccessorIN3c108ArrayRefIlEET_Lm4ENS4_16DefaultPtrTraitsElEENS_6detail16IndexBoundsCheckILm5ElEESB_Lm5ESC_lEENS6_INS7_ISA_KSB_Lm4ESC_lEESG_SI_Lm5ESC_lEElllll
; %bb.0:
	s_load_dword s5, s[0:1], 0xe4
	s_load_dwordx4 s[8:11], s[0:1], 0x70
	s_load_dwordx2 s[34:35], s[0:1], 0x80
	v_mov_b32_e32 v2, 0
	v_mov_b32_e32 v1, v2
	s_waitcnt lgkmcnt(0)
	s_and_b32 s5, s5, 0xffff
	v_mov_b32_e32 v3, s2
	v_mad_u64_u32 v[0:1], s[6:7], s5, v3, v[0:1]
	s_mul_i32 s2, s34, s11
	s_mul_hi_u32 s5, s34, s10
	s_add_i32 s5, s5, s2
	s_mul_i32 s2, s35, s10
	s_add_i32 s5, s5, s2
	s_mul_i32 s2, s34, s10
	s_mul_i32 s6, s2, s9
	s_mul_hi_u32 s7, s2, s8
	s_add_i32 s6, s7, s6
	s_mul_i32 s7, s5, s8
	s_add_i32 s7, s6, s7
	s_mul_i32 s6, s2, s8
	v_cmp_gt_i64_e32 vcc, s[6:7], v[0:1]
	s_and_saveexec_b64 s[6:7], vcc
	s_cbranch_execz .LBB68_14
; %bb.1:
	v_or_b32_e32 v3, s35, v1
	v_cmp_ne_u64_e32 vcc, 0, v[2:3]
	v_ashrrev_i32_e32 v2, 31, v1
                                        ; implicit-def: $vgpr6_vgpr7
	s_and_saveexec_b64 s[6:7], vcc
	s_xor_b64 s[8:9], exec, s[6:7]
	s_cbranch_execz .LBB68_3
; %bb.2:
	s_ashr_i32 s12, s35, 31
	s_add_u32 s6, s34, s12
	s_mov_b32 s13, s12
	s_addc_u32 s7, s35, s12
	s_xor_b64 s[14:15], s[6:7], s[12:13]
	v_cvt_f32_u32_e32 v3, s14
	v_cvt_f32_u32_e32 v4, s15
	s_sub_u32 s13, 0, s14
	s_subb_u32 s16, 0, s15
	v_mov_b32_e32 v7, 0
	v_fmamk_f32 v3, v4, 0x4f800000, v3
	v_rcp_f32_e32 v3, v3
	s_nop 0
	v_mul_f32_e32 v3, 0x5f7ffffc, v3
	v_mul_f32_e32 v4, 0x2f800000, v3
	v_trunc_f32_e32 v4, v4
	v_fmamk_f32 v3, v4, 0xcf800000, v3
	v_cvt_u32_f32_e32 v4, v4
	v_cvt_u32_f32_e32 v3, v3
	v_readfirstlane_b32 s17, v4
	v_readfirstlane_b32 s6, v3
	s_mul_i32 s7, s13, s17
	s_mul_hi_u32 s19, s13, s6
	s_mul_i32 s18, s16, s6
	s_add_i32 s7, s19, s7
	s_add_i32 s7, s7, s18
	s_mul_i32 s20, s13, s6
	s_mul_i32 s19, s6, s7
	s_mul_hi_u32 s21, s6, s20
	s_mul_hi_u32 s18, s6, s7
	s_add_u32 s19, s21, s19
	s_addc_u32 s18, 0, s18
	s_mul_hi_u32 s22, s17, s20
	s_mul_i32 s20, s17, s20
	s_add_u32 s19, s19, s20
	s_mul_hi_u32 s21, s17, s7
	s_addc_u32 s18, s18, s22
	s_addc_u32 s19, s21, 0
	s_mul_i32 s7, s17, s7
	s_add_u32 s7, s18, s7
	s_addc_u32 s18, 0, s19
	s_add_u32 s19, s6, s7
	s_cselect_b64 s[6:7], -1, 0
	s_cmp_lg_u64 s[6:7], 0
	s_addc_u32 s17, s17, s18
	s_mul_i32 s6, s13, s17
	s_mul_hi_u32 s7, s13, s19
	s_add_i32 s6, s7, s6
	s_mul_i32 s16, s16, s19
	s_add_i32 s6, s6, s16
	s_mul_i32 s13, s13, s19
	s_mul_hi_u32 s16, s17, s13
	s_mul_i32 s18, s17, s13
	s_mul_i32 s21, s19, s6
	s_mul_hi_u32 s13, s19, s13
	s_mul_hi_u32 s20, s19, s6
	s_add_u32 s13, s13, s21
	s_addc_u32 s20, 0, s20
	s_add_u32 s13, s13, s18
	s_mul_hi_u32 s7, s17, s6
	s_addc_u32 s13, s20, s16
	s_addc_u32 s7, s7, 0
	s_mul_i32 s6, s17, s6
	s_add_u32 s6, s13, s6
	s_addc_u32 s13, 0, s7
	s_add_u32 s16, s19, s6
	s_cselect_b64 s[6:7], -1, 0
	v_mov_b32_e32 v3, v2
	s_cmp_lg_u64 s[6:7], 0
	v_lshl_add_u64 v[4:5], v[0:1], 0, v[2:3]
	s_addc_u32 s13, s17, s13
	v_xor_b32_e32 v12, v4, v2
	v_xor_b32_e32 v3, v5, v2
	v_mad_u64_u32 v[4:5], s[6:7], v12, s13, 0
	v_mul_hi_u32 v6, v12, s16
	v_lshl_add_u64 v[4:5], v[6:7], 0, v[4:5]
	v_mad_u64_u32 v[10:11], s[6:7], v3, s16, 0
	v_add_co_u32_e32 v4, vcc, v4, v10
	v_mad_u64_u32 v[8:9], s[6:7], v3, s13, 0
	s_nop 0
	v_addc_co_u32_e32 v6, vcc, v5, v11, vcc
	s_nop 1
	v_addc_co_u32_e32 v9, vcc, 0, v9, vcc
	v_lshl_add_u64 v[4:5], v[6:7], 0, v[8:9]
	v_mul_lo_u32 v8, s15, v4
	v_mul_lo_u32 v9, s14, v5
	v_mad_u64_u32 v[6:7], s[6:7], s14, v4, 0
	v_add3_u32 v10, v7, v9, v8
	v_sub_u32_e32 v7, v3, v10
	v_mov_b32_e32 v8, s15
	v_sub_co_u32_e32 v11, vcc, v12, v6
	s_nop 1
	v_subb_co_u32_e64 v6, s[6:7], v7, v8, vcc
	v_subrev_co_u32_e64 v7, s[6:7], s14, v11
	v_subb_co_u32_e32 v3, vcc, v3, v10, vcc
	s_nop 0
	v_subbrev_co_u32_e64 v6, s[6:7], 0, v6, s[6:7]
	v_cmp_le_u32_e64 s[6:7], s15, v6
	v_cmp_le_u32_e32 vcc, s15, v3
	s_nop 0
	v_cndmask_b32_e64 v8, 0, -1, s[6:7]
	v_cmp_le_u32_e64 s[6:7], s14, v7
	s_nop 1
	v_cndmask_b32_e64 v7, 0, -1, s[6:7]
	v_cmp_eq_u32_e64 s[6:7], s15, v6
	s_nop 1
	v_cndmask_b32_e64 v12, v8, v7, s[6:7]
	v_lshl_add_u64 v[6:7], v[4:5], 0, 2
	v_lshl_add_u64 v[8:9], v[4:5], 0, 1
	v_cmp_ne_u32_e64 s[6:7], 0, v12
	s_nop 1
	v_cndmask_b32_e64 v7, v9, v7, s[6:7]
	v_cndmask_b32_e64 v9, 0, -1, vcc
	v_cmp_le_u32_e32 vcc, s14, v11
	s_nop 1
	v_cndmask_b32_e64 v10, 0, -1, vcc
	v_cmp_eq_u32_e32 vcc, s15, v3
	s_nop 1
	v_cndmask_b32_e32 v3, v9, v10, vcc
	v_cmp_ne_u32_e32 vcc, 0, v3
	s_nop 1
	v_cndmask_b32_e32 v3, v5, v7, vcc
	v_cndmask_b32_e64 v5, v8, v6, s[6:7]
	v_cndmask_b32_e32 v4, v4, v5, vcc
	v_xor_b32_e32 v5, s12, v2
	v_xor_b32_e32 v4, v4, v5
	;; [unrolled: 1-line block ×3, first 2 shown]
	v_sub_co_u32_e32 v6, vcc, v4, v5
	s_nop 1
	v_subb_co_u32_e32 v7, vcc, v3, v5, vcc
.LBB68_3:
	s_andn2_saveexec_b64 s[6:7], s[8:9]
	s_cbranch_execz .LBB68_5
; %bb.4:
	v_cvt_f32_u32_e32 v3, s34
	s_sub_i32 s8, 0, s34
	v_mov_b32_e32 v7, 0
	v_rcp_iflag_f32_e32 v3, v3
	s_nop 0
	v_mul_f32_e32 v3, 0x4f7ffffe, v3
	v_cvt_u32_f32_e32 v3, v3
	v_mul_lo_u32 v4, s8, v3
	v_mul_hi_u32 v4, v3, v4
	v_add_u32_e32 v3, v3, v4
	v_mul_hi_u32 v3, v0, v3
	v_mul_lo_u32 v4, v3, s34
	v_sub_u32_e32 v4, v0, v4
	v_add_u32_e32 v5, 1, v3
	v_subrev_u32_e32 v6, s34, v4
	v_cmp_le_u32_e32 vcc, s34, v4
	s_nop 1
	v_cndmask_b32_e32 v4, v4, v6, vcc
	v_cndmask_b32_e32 v3, v3, v5, vcc
	v_add_u32_e32 v5, 1, v3
	v_cmp_le_u32_e32 vcc, s34, v4
	s_nop 1
	v_cndmask_b32_e32 v6, v3, v5, vcc
.LBB68_5:
	s_or_b64 exec, exec, s[6:7]
	v_or_b32_e32 v9, s11, v7
	v_mov_b32_e32 v8, 0
	v_cmp_ne_u64_e32 vcc, 0, v[8:9]
                                        ; implicit-def: $vgpr4_vgpr5
	s_and_saveexec_b64 s[6:7], vcc
	s_xor_b64 s[12:13], exec, s[6:7]
	s_cbranch_execz .LBB68_7
; %bb.6:
	s_ashr_i32 s6, s11, 31
	s_add_u32 s8, s10, s6
	s_mov_b32 s7, s6
	s_addc_u32 s9, s11, s6
	s_xor_b64 s[14:15], s[8:9], s[6:7]
	v_cvt_f32_u32_e32 v3, s14
	v_cvt_f32_u32_e32 v4, s15
	s_sub_u32 s8, 0, s14
	s_subb_u32 s9, 0, s15
	v_ashrrev_i32_e32 v10, 31, v7
	v_fmamk_f32 v3, v4, 0x4f800000, v3
	v_rcp_f32_e32 v3, v3
	v_mov_b32_e32 v11, v10
	v_mov_b32_e32 v13, v8
	v_mul_f32_e32 v3, 0x5f7ffffc, v3
	v_mul_f32_e32 v4, 0x2f800000, v3
	v_trunc_f32_e32 v4, v4
	v_fmamk_f32 v3, v4, 0xcf800000, v3
	v_cvt_u32_f32_e32 v4, v4
	v_cvt_u32_f32_e32 v3, v3
	v_readfirstlane_b32 s11, v4
	v_readfirstlane_b32 s6, v3
	s_mul_i32 s7, s8, s11
	s_mul_hi_u32 s17, s8, s6
	s_mul_i32 s16, s9, s6
	s_add_i32 s7, s17, s7
	s_add_i32 s7, s7, s16
	s_mul_i32 s18, s8, s6
	s_mul_i32 s17, s6, s7
	s_mul_hi_u32 s19, s6, s18
	s_mul_hi_u32 s16, s6, s7
	s_add_u32 s17, s19, s17
	s_addc_u32 s16, 0, s16
	s_mul_hi_u32 s20, s11, s18
	s_mul_i32 s18, s11, s18
	s_add_u32 s17, s17, s18
	s_mul_hi_u32 s19, s11, s7
	s_addc_u32 s16, s16, s20
	s_addc_u32 s17, s19, 0
	s_mul_i32 s7, s11, s7
	s_add_u32 s7, s16, s7
	s_addc_u32 s16, 0, s17
	s_add_u32 s17, s6, s7
	s_cselect_b64 s[6:7], -1, 0
	s_cmp_lg_u64 s[6:7], 0
	s_addc_u32 s11, s11, s16
	s_mul_i32 s6, s8, s11
	s_mul_hi_u32 s7, s8, s17
	s_add_i32 s6, s7, s6
	s_mul_i32 s9, s9, s17
	s_add_i32 s6, s6, s9
	s_mul_i32 s8, s8, s17
	s_mul_hi_u32 s9, s11, s8
	s_mul_i32 s16, s11, s8
	s_mul_i32 s19, s17, s6
	s_mul_hi_u32 s8, s17, s8
	s_mul_hi_u32 s18, s17, s6
	s_add_u32 s8, s8, s19
	s_addc_u32 s18, 0, s18
	s_add_u32 s8, s8, s16
	s_mul_hi_u32 s7, s11, s6
	s_addc_u32 s8, s18, s9
	s_addc_u32 s7, s7, 0
	s_mul_i32 s6, s11, s6
	s_add_u32 s6, s8, s6
	s_addc_u32 s8, 0, s7
	s_add_u32 s9, s17, s6
	s_cselect_b64 s[6:7], -1, 0
	s_cmp_lg_u64 s[6:7], 0
	v_lshl_add_u64 v[4:5], v[6:7], 0, v[10:11]
	s_addc_u32 s8, s11, s8
	v_xor_b32_e32 v9, v4, v10
	v_xor_b32_e32 v3, v5, v10
	v_mad_u64_u32 v[4:5], s[6:7], v9, s8, 0
	v_mul_hi_u32 v12, v9, s9
	v_lshl_add_u64 v[4:5], v[12:13], 0, v[4:5]
	v_mad_u64_u32 v[14:15], s[6:7], v3, s9, 0
	v_add_co_u32_e32 v4, vcc, v4, v14
	v_mad_u64_u32 v[12:13], s[6:7], v3, s8, 0
	s_nop 0
	v_addc_co_u32_e32 v4, vcc, v5, v15, vcc
	v_mov_b32_e32 v5, v8
	s_nop 0
	v_addc_co_u32_e32 v13, vcc, 0, v13, vcc
	v_lshl_add_u64 v[4:5], v[4:5], 0, v[12:13]
	v_mul_lo_u32 v8, s15, v4
	v_mul_lo_u32 v11, s14, v5
	v_mad_u64_u32 v[4:5], s[6:7], s14, v4, 0
	v_add3_u32 v5, v5, v11, v8
	v_sub_u32_e32 v8, v3, v5
	v_mov_b32_e32 v11, s15
	v_sub_co_u32_e32 v4, vcc, v9, v4
	s_nop 1
	v_subb_co_u32_e64 v8, s[6:7], v8, v11, vcc
	v_subrev_co_u32_e64 v9, s[6:7], s14, v4
	v_subb_co_u32_e32 v3, vcc, v3, v5, vcc
	s_nop 0
	v_subbrev_co_u32_e64 v12, s[8:9], 0, v8, s[6:7]
	v_cmp_le_u32_e64 s[8:9], s15, v12
	v_subb_co_u32_e64 v8, s[6:7], v8, v11, s[6:7]
	s_nop 0
	v_cndmask_b32_e64 v13, 0, -1, s[8:9]
	v_cmp_le_u32_e64 s[8:9], s14, v9
	v_subrev_co_u32_e64 v11, s[6:7], s14, v9
	s_nop 0
	v_cndmask_b32_e64 v14, 0, -1, s[8:9]
	v_cmp_eq_u32_e64 s[8:9], s15, v12
	v_subbrev_co_u32_e64 v8, s[6:7], 0, v8, s[6:7]
	s_nop 0
	v_cndmask_b32_e64 v13, v13, v14, s[8:9]
	v_cmp_le_u32_e32 vcc, s15, v3
	v_cmp_ne_u32_e64 s[6:7], 0, v13
	s_nop 0
	v_cndmask_b32_e64 v5, 0, -1, vcc
	v_cmp_le_u32_e32 vcc, s14, v4
	v_cndmask_b32_e64 v8, v12, v8, s[6:7]
	s_nop 0
	v_cndmask_b32_e64 v12, 0, -1, vcc
	v_cmp_eq_u32_e32 vcc, s15, v3
	s_nop 1
	v_cndmask_b32_e32 v5, v5, v12, vcc
	v_cmp_ne_u32_e32 vcc, 0, v5
	v_cndmask_b32_e64 v5, v9, v11, s[6:7]
	s_nop 0
	v_cndmask_b32_e32 v4, v4, v5, vcc
	v_cndmask_b32_e32 v3, v3, v8, vcc
	v_xor_b32_e32 v4, v4, v10
	v_xor_b32_e32 v3, v3, v10
	v_sub_co_u32_e32 v4, vcc, v4, v10
	s_nop 1
	v_subb_co_u32_e32 v5, vcc, v3, v10, vcc
.LBB68_7:
	s_or_saveexec_b64 s[6:7], s[12:13]
	s_load_dwordx2 s[46:47], s[0:1], 0xa8
	s_load_dwordx8 s[24:31], s[0:1], 0x88
	s_xor_b64 exec, exec, s[6:7]
	s_cbranch_execz .LBB68_9
; %bb.8:
	v_cvt_f32_u32_e32 v3, s10
	s_sub_i32 s8, 0, s10
	v_mov_b32_e32 v5, 0
	v_rcp_iflag_f32_e32 v3, v3
	s_nop 0
	v_mul_f32_e32 v3, 0x4f7ffffe, v3
	v_cvt_u32_f32_e32 v3, v3
	v_mul_lo_u32 v4, s8, v3
	v_mul_hi_u32 v4, v3, v4
	v_add_u32_e32 v3, v3, v4
	v_mul_hi_u32 v3, v6, v3
	v_mul_lo_u32 v3, v3, s10
	v_sub_u32_e32 v3, v6, v3
	v_subrev_u32_e32 v4, s10, v3
	v_cmp_le_u32_e32 vcc, s10, v3
	s_nop 1
	v_cndmask_b32_e32 v3, v3, v4, vcc
	v_subrev_u32_e32 v4, s10, v3
	v_cmp_le_u32_e32 vcc, s10, v3
	s_nop 1
	v_cndmask_b32_e32 v4, v3, v4, vcc
.LBB68_9:
	s_or_b64 exec, exec, s[6:7]
	s_load_dwordx2 s[48:49], s[0:1], 0x58
	s_load_dwordx2 s[44:45], s[0:1], 0x0
	v_or_b32_e32 v11, s5, v1
	v_mov_b32_e32 v10, 0
	v_cmp_ne_u64_e32 vcc, 0, v[10:11]
                                        ; implicit-def: $vgpr8_vgpr9
	s_and_saveexec_b64 s[6:7], vcc
	s_xor_b64 s[8:9], exec, s[6:7]
	s_cbranch_execz .LBB68_11
; %bb.10:
	s_ashr_i32 s10, s5, 31
	s_add_u32 s6, s2, s10
	s_mov_b32 s11, s10
	s_addc_u32 s7, s5, s10
	s_xor_b64 s[12:13], s[6:7], s[10:11]
	v_cvt_f32_u32_e32 v3, s12
	v_cvt_f32_u32_e32 v8, s13
	s_sub_u32 s5, 0, s12
	s_subb_u32 s11, 0, s13
	v_mov_b32_e32 v13, v10
	v_fmamk_f32 v3, v8, 0x4f800000, v3
	v_rcp_f32_e32 v3, v3
	s_nop 0
	v_mul_f32_e32 v3, 0x5f7ffffc, v3
	v_mul_f32_e32 v8, 0x2f800000, v3
	v_trunc_f32_e32 v8, v8
	v_fmamk_f32 v3, v8, 0xcf800000, v3
	v_cvt_u32_f32_e32 v8, v8
	v_cvt_u32_f32_e32 v3, v3
	v_readfirstlane_b32 s14, v8
	v_readfirstlane_b32 s6, v3
	s_mul_i32 s7, s5, s14
	s_mul_hi_u32 s16, s5, s6
	s_mul_i32 s15, s11, s6
	s_add_i32 s7, s16, s7
	s_add_i32 s7, s7, s15
	s_mul_i32 s17, s5, s6
	s_mul_i32 s16, s6, s7
	s_mul_hi_u32 s18, s6, s17
	s_mul_hi_u32 s15, s6, s7
	s_add_u32 s16, s18, s16
	s_addc_u32 s15, 0, s15
	s_mul_hi_u32 s19, s14, s17
	s_mul_i32 s17, s14, s17
	s_add_u32 s16, s16, s17
	s_mul_hi_u32 s18, s14, s7
	s_addc_u32 s15, s15, s19
	s_addc_u32 s16, s18, 0
	s_mul_i32 s7, s14, s7
	s_add_u32 s7, s15, s7
	s_addc_u32 s15, 0, s16
	s_add_u32 s16, s6, s7
	s_cselect_b64 s[6:7], -1, 0
	s_cmp_lg_u64 s[6:7], 0
	s_addc_u32 s14, s14, s15
	s_mul_i32 s6, s5, s14
	s_mul_hi_u32 s7, s5, s16
	s_add_i32 s6, s7, s6
	s_mul_i32 s11, s11, s16
	s_add_i32 s6, s6, s11
	s_mul_i32 s5, s5, s16
	s_mul_hi_u32 s11, s14, s5
	s_mul_i32 s15, s14, s5
	s_mul_i32 s18, s16, s6
	s_mul_hi_u32 s5, s16, s5
	s_mul_hi_u32 s17, s16, s6
	s_add_u32 s5, s5, s18
	s_addc_u32 s17, 0, s17
	s_add_u32 s5, s5, s15
	s_mul_hi_u32 s7, s14, s6
	s_addc_u32 s5, s17, s11
	s_addc_u32 s7, s7, 0
	s_mul_i32 s6, s14, s6
	s_add_u32 s5, s5, s6
	s_addc_u32 s11, 0, s7
	s_add_u32 s5, s16, s5
	s_cselect_b64 s[6:7], -1, 0
	v_mov_b32_e32 v3, v2
	s_cmp_lg_u64 s[6:7], 0
	v_lshl_add_u64 v[8:9], v[0:1], 0, v[2:3]
	s_addc_u32 s11, s14, s11
	v_xor_b32_e32 v16, v8, v2
	v_xor_b32_e32 v3, v9, v2
	v_mad_u64_u32 v[8:9], s[6:7], v16, s11, 0
	v_mul_hi_u32 v12, v16, s5
	v_lshl_add_u64 v[8:9], v[12:13], 0, v[8:9]
	v_mad_u64_u32 v[14:15], s[6:7], v3, s5, 0
	v_add_co_u32_e32 v8, vcc, v8, v14
	v_mad_u64_u32 v[12:13], s[6:7], v3, s11, 0
	s_nop 0
	v_addc_co_u32_e32 v8, vcc, v9, v15, vcc
	v_mov_b32_e32 v9, v10
	s_nop 0
	v_addc_co_u32_e32 v13, vcc, 0, v13, vcc
	v_lshl_add_u64 v[8:9], v[8:9], 0, v[12:13]
	v_mul_lo_u32 v12, s13, v8
	v_mul_lo_u32 v13, s12, v9
	v_mad_u64_u32 v[10:11], s[6:7], s12, v8, 0
	v_add3_u32 v14, v11, v13, v12
	v_sub_u32_e32 v11, v3, v14
	v_mov_b32_e32 v12, s13
	v_sub_co_u32_e32 v15, vcc, v16, v10
	v_xor_b32_e32 v2, s10, v2
	s_nop 0
	v_subb_co_u32_e64 v10, s[6:7], v11, v12, vcc
	v_subrev_co_u32_e64 v11, s[6:7], s12, v15
	v_subb_co_u32_e32 v3, vcc, v3, v14, vcc
	s_nop 0
	v_subbrev_co_u32_e64 v10, s[6:7], 0, v10, s[6:7]
	v_cmp_le_u32_e64 s[6:7], s13, v10
	v_cmp_le_u32_e32 vcc, s13, v3
	s_nop 0
	v_cndmask_b32_e64 v12, 0, -1, s[6:7]
	v_cmp_le_u32_e64 s[6:7], s12, v11
	s_nop 1
	v_cndmask_b32_e64 v11, 0, -1, s[6:7]
	v_cmp_eq_u32_e64 s[6:7], s13, v10
	s_nop 1
	v_cndmask_b32_e64 v16, v12, v11, s[6:7]
	v_lshl_add_u64 v[10:11], v[8:9], 0, 2
	v_lshl_add_u64 v[12:13], v[8:9], 0, 1
	v_cmp_ne_u32_e64 s[6:7], 0, v16
	s_nop 1
	v_cndmask_b32_e64 v11, v13, v11, s[6:7]
	v_cndmask_b32_e64 v13, 0, -1, vcc
	v_cmp_le_u32_e32 vcc, s12, v15
	s_nop 1
	v_cndmask_b32_e64 v14, 0, -1, vcc
	v_cmp_eq_u32_e32 vcc, s13, v3
	s_nop 1
	v_cndmask_b32_e32 v3, v13, v14, vcc
	v_cmp_ne_u32_e32 vcc, 0, v3
	s_nop 1
	v_cndmask_b32_e32 v3, v9, v11, vcc
	v_cndmask_b32_e64 v9, v12, v10, s[6:7]
	v_cndmask_b32_e32 v8, v8, v9, vcc
	v_xor_b32_e32 v8, v8, v2
	v_xor_b32_e32 v3, v3, v2
	v_sub_co_u32_e32 v8, vcc, v8, v2
	s_nop 1
	v_subb_co_u32_e32 v9, vcc, v3, v2, vcc
.LBB68_11:
	s_or_saveexec_b64 s[6:7], s[8:9]
	s_load_dwordx16 s[8:23], s[0:1], 0x18
	s_xor_b64 exec, exec, s[6:7]
	s_cbranch_execz .LBB68_13
; %bb.12:
	v_cvt_f32_u32_e32 v2, s2
	s_sub_i32 s5, 0, s2
	v_rcp_iflag_f32_e32 v2, v2
	s_nop 0
	v_mul_f32_e32 v2, 0x4f7ffffe, v2
	v_cvt_u32_f32_e32 v2, v2
	v_mul_lo_u32 v3, s5, v2
	v_mul_hi_u32 v3, v2, v3
	v_add_u32_e32 v2, v2, v3
	v_mul_hi_u32 v2, v0, v2
	v_mul_lo_u32 v3, v2, s2
	v_sub_u32_e32 v3, v0, v3
	v_add_u32_e32 v8, 1, v2
	v_subrev_u32_e32 v9, s2, v3
	v_cmp_le_u32_e32 vcc, s2, v3
	s_nop 1
	v_cndmask_b32_e32 v3, v3, v9, vcc
	v_cndmask_b32_e32 v2, v2, v8, vcc
	v_add_u32_e32 v8, 1, v2
	v_cmp_le_u32_e32 vcc, s2, v3
	v_mov_b32_e32 v9, 0
	s_nop 0
	v_cndmask_b32_e32 v8, v2, v8, vcc
.LBB68_13:
	s_or_b64 exec, exec, s[6:7]
	s_load_dwordx8 s[36:43], s[0:1], 0xb0
	v_mad_u64_u32 v[2:3], s[6:7], v6, s34, 0
	v_mul_lo_u32 v7, v7, s34
	v_mul_lo_u32 v10, v6, s35
	s_waitcnt lgkmcnt(0)
	s_sub_u32 s6, 0, s36
	s_subb_u32 s7, 0, s37
	s_sub_u32 s34, 0, s38
	s_subb_u32 s35, 0, s39
	;; [unrolled: 2-line block ×3, first 2 shown]
	v_cmp_gt_i64_e64 s[52:53], s[6:7], 0
	s_and_b64 s[52:53], s[52:53], exec
	s_cselect_b32 s2, s7, 0
	s_cselect_b32 s5, s6, 0
	v_cmp_gt_i64_e64 s[6:7], s[36:37], 0
	s_and_b64 s[6:7], s[6:7], exec
	v_cmp_gt_i64_e64 s[6:7], s[34:35], 0
	s_cselect_b32 s53, s37, 0
	s_cselect_b32 s52, s36, 0
	s_and_b64 s[6:7], s[6:7], exec
	v_add3_u32 v3, v3, v10, v7
	v_sub_co_u32_e32 v0, vcc, v0, v2
	v_cmp_gt_i64_e64 s[6:7], s[38:39], 0
	s_nop 0
	v_subb_co_u32_e32 v1, vcc, v1, v3, vcc
	s_cselect_b32 s33, s35, 0
	s_cselect_b32 s54, s34, 0
	s_and_b64 s[6:7], s[6:7], exec
	v_cmp_gt_i64_e64 s[6:7], s[50:51], 0
	v_mov_b32_e32 v2, s37
	v_subrev_co_u32_e32 v3, vcc, s36, v0
	s_cselect_b32 s35, s39, 0
	s_cselect_b32 s34, s38, 0
	s_and_b64 s[6:7], s[6:7], exec
	v_subb_co_u32_e32 v2, vcc, v1, v2, vcc
	v_cmp_gt_i64_e64 s[6:7], s[40:41], 0
	v_ashrrev_i32_e32 v6, 31, v2
	s_cselect_b32 s55, s51, 0
	s_cselect_b32 s56, s50, 0
	s_and_b64 s[6:7], s[6:7], exec
	v_xor_b32_e32 v7, v2, v6
	v_xor_b32_e32 v2, v3, v6
	s_cselect_b32 s7, s41, 0
	s_cselect_b32 s6, s40, 0
	v_sub_co_u32_e32 v2, vcc, v2, v6
	s_add_u32 s50, s36, s12
	s_nop 0
	v_subb_co_u32_e32 v3, vcc, v7, v6, vcc
	s_addc_u32 s51, s37, s13
	v_mov_b32_e32 v7, s51
	v_subrev_co_u32_e32 v6, vcc, s50, v0
	s_lshl_b64 s[36:37], s[36:37], 1
	s_nop 0
	v_subb_co_u32_e32 v7, vcc, v1, v7, vcc
	s_not_b64 s[50:51], s[52:53]
	v_lshl_add_u64 v[6:7], v[6:7], 0, 1
	s_add_u32 s36, s36, s50
	v_ashrrev_i32_e32 v10, 31, v7
	s_addc_u32 s37, s37, s51
	v_xor_b32_e32 v6, v6, v10
	s_add_u32 s5, s36, s5
	v_xor_b32_e32 v7, v7, v10
	v_sub_co_u32_e32 v6, vcc, v6, v10
	s_addc_u32 s2, s37, s2
	s_nop 0
	v_subb_co_u32_e32 v7, vcc, v7, v10, vcc
	s_add_u32 s5, s5, s12
	s_addc_u32 s2, s2, s13
	v_lshl_add_u64 v[6:7], v[0:1], 0, v[6:7]
	v_mov_b32_e32 v10, s2
	v_sub_co_u32_e32 v6, vcc, s5, v6
	s_add_u32 s2, s38, s10
	s_nop 0
	v_subb_co_u32_e32 v7, vcc, v10, v7, vcc
	v_lshl_add_u64 v[2:3], v[6:7], 0, v[2:3]
	v_mov_b32_e32 v6, s39
	v_subrev_co_u32_e32 v7, vcc, s38, v4
	s_addc_u32 s5, s39, s11
	s_nop 0
	v_subb_co_u32_e32 v6, vcc, v5, v6, vcc
	v_ashrrev_i32_e32 v10, 31, v6
	v_xor_b32_e32 v11, v6, v10
	v_xor_b32_e32 v6, v7, v10
	v_sub_co_u32_e32 v6, vcc, v6, v10
	s_lshl_b64 s[12:13], s[38:39], 1
	s_nop 0
	v_subb_co_u32_e32 v7, vcc, v11, v10, vcc
	s_not_b64 s[34:35], s[34:35]
	v_subrev_co_u32_e32 v10, vcc, s2, v4
	s_add_u32 s2, s12, s34
	v_mov_b32_e32 v11, s5
	s_addc_u32 s5, s13, s35
	s_add_u32 s2, s2, s54
	s_addc_u32 s5, s5, s33
	s_add_u32 s12, s2, s10
	;; [unrolled: 2-line block ×3, first 2 shown]
	s_addc_u32 s33, s41, s9
	s_lshl_b64 s[10:11], s[40:41], 1
	s_not_b64 s[6:7], s[6:7]
	s_add_u32 s2, s10, s6
	s_addc_u32 s6, s11, s7
	s_add_u32 s2, s2, s56
	s_load_dwordx2 s[0:1], s[0:1], 0xd0
	s_addc_u32 s6, s6, s55
	s_add_u32 s7, s2, s8
	s_addc_u32 s6, s6, s9
	s_add_u32 s8, s42, s3
	s_addc_u32 s9, s43, 0
	s_waitcnt lgkmcnt(0)
	s_add_u32 s4, s0, s4
	s_addc_u32 s10, s1, 0
	s_mul_i32 s0, s24, s10
	s_mul_hi_u32 s1, s24, s4
	s_add_i32 s0, s1, s0
	s_mul_i32 s1, s25, s4
	s_add_i32 s1, s0, s1
	s_mul_i32 s0, s24, s4
	s_lshl_b64 s[0:1], s[0:1], 3
	s_add_u32 s2, s48, s0
	s_addc_u32 s3, s49, s1
	s_mul_i32 s0, s26, s9
	s_mul_hi_u32 s1, s26, s8
	s_add_i32 s0, s1, s0
	s_mul_i32 s1, s27, s8
	v_subb_co_u32_e32 v11, vcc, v5, v11, vcc
	s_add_i32 s1, s0, s1
	s_mul_i32 s0, s26, s8
	v_lshl_add_u64 v[10:11], v[10:11], 0, 1
	s_lshl_b64 s[0:1], s[0:1], 3
	v_ashrrev_i32_e32 v14, 31, v11
	s_add_u32 s0, s2, s0
	v_xor_b32_e32 v15, v11, v14
	v_xor_b32_e32 v16, v10, v14
	s_addc_u32 s1, s3, s1
	v_mul_lo_u32 v12, v9, s28
	v_mul_lo_u32 v13, v8, s29
	v_mad_u64_u32 v[10:11], s[2:3], v8, s28, 0
	v_add3_u32 v11, v11, v13, v12
	v_lshl_add_u64 v[10:11], v[10:11], 3, s[0:1]
	v_mul_lo_u32 v17, v5, s30
	v_mul_lo_u32 v18, v4, s31
	v_mad_u64_u32 v[12:13], s[0:1], v4, s30, 0
	v_add3_u32 v13, v13, v18, v17
	v_lshl_add_u64 v[10:11], v[12:13], 3, v[10:11]
	;; [unrolled: 5-line block ×3, first 2 shown]
	global_load_dwordx2 v[0:1], v[0:1], off
	v_sub_co_u32_e32 v10, vcc, v16, v14
	s_mul_i32 s0, s14, s10
	s_nop 0
	v_subb_co_u32_e32 v11, vcc, v15, v14, vcc
	v_lshl_add_u64 v[4:5], v[4:5], 0, v[10:11]
	v_mov_b32_e32 v10, s5
	v_sub_co_u32_e32 v4, vcc, s12, v4
	s_mul_hi_u32 s1, s14, s4
	s_nop 0
	v_subb_co_u32_e32 v5, vcc, v10, v5, vcc
	v_lshl_add_u64 v[4:5], v[4:5], 0, v[6:7]
	v_mov_b32_e32 v6, s41
	v_subrev_co_u32_e32 v7, vcc, s40, v8
	s_add_i32 s0, s1, s0
	s_nop 0
	v_subb_co_u32_e32 v6, vcc, v9, v6, vcc
	v_ashrrev_i32_e32 v10, 31, v6
	v_xor_b32_e32 v11, v6, v10
	v_xor_b32_e32 v6, v7, v10
	v_sub_co_u32_e32 v6, vcc, v6, v10
	s_mul_i32 s1, s15, s4
	s_nop 0
	v_subb_co_u32_e32 v7, vcc, v11, v10, vcc
	v_mov_b32_e32 v11, s33
	v_subrev_co_u32_e32 v10, vcc, s13, v8
	s_add_i32 s1, s0, s1
	s_nop 0
	v_subb_co_u32_e32 v11, vcc, v9, v11, vcc
	v_lshl_add_u64 v[10:11], v[10:11], 0, 1
	v_ashrrev_i32_e32 v12, 31, v11
	s_mul_i32 s0, s14, s4
	v_xor_b32_e32 v10, v10, v12
	s_lshl_b64 s[0:1], s[0:1], 3
	v_xor_b32_e32 v11, v11, v12
	v_sub_co_u32_e32 v10, vcc, v10, v12
	s_add_u32 s2, s44, s0
	s_nop 0
	v_subb_co_u32_e32 v11, vcc, v11, v12, vcc
	s_addc_u32 s3, s45, s1
	s_mul_i32 s0, s16, s9
	s_mul_hi_u32 s1, s16, s8
	v_lshl_add_u64 v[8:9], v[8:9], 0, v[10:11]
	s_add_i32 s0, s1, s0
	s_mul_i32 s1, s17, s8
	v_mov_b32_e32 v10, s6
	v_sub_co_u32_e32 v8, vcc, s7, v8
	s_add_i32 s1, s0, s1
	s_mul_i32 s0, s16, s8
	v_subb_co_u32_e32 v9, vcc, v10, v9, vcc
	s_lshl_b64 s[0:1], s[0:1], 3
	v_lshl_add_u64 v[6:7], v[8:9], 0, v[6:7]
	s_add_u32 s0, s2, s0
	s_addc_u32 s1, s3, s1
	v_mul_lo_u32 v8, v7, s18
	v_mul_lo_u32 v9, v6, s19
	v_mad_u64_u32 v[6:7], s[2:3], v6, s18, 0
	v_add3_u32 v7, v7, v9, v8
	v_lshl_add_u64 v[6:7], v[6:7], 3, s[0:1]
	v_mul_lo_u32 v8, v5, s20
	v_mul_lo_u32 v9, v4, s21
	v_mad_u64_u32 v[4:5], s[0:1], v4, s20, 0
	v_add3_u32 v5, v5, v9, v8
	v_lshl_add_u64 v[4:5], v[4:5], 3, v[6:7]
	;; [unrolled: 5-line block ×3, first 2 shown]
	s_waitcnt vmcnt(0)
	global_atomic_add_f64 v[2:3], v[0:1], off
.LBB68_14:
	s_endpgm
	.section	.rodata,"a",@progbits
	.p2align	6, 0x0
	.amdhsa_kernel _ZN2at6native12_GLOBAL__N_136reflection_pad3d_backward_out_kernelIdEEvN5torch10headeronly6detail27GenericPackedTensorAccessorINS5_14TensorAccessorIN3c108ArrayRefIlEET_Lm4ENS4_16DefaultPtrTraitsElEENS_6detail16IndexBoundsCheckILm5ElEESB_Lm5ESC_lEENS6_INS7_ISA_KSB_Lm4ESC_lEESG_SI_Lm5ESC_lEElllll
		.amdhsa_group_segment_fixed_size 0
		.amdhsa_private_segment_fixed_size 0
		.amdhsa_kernarg_size 472
		.amdhsa_user_sgpr_count 2
		.amdhsa_user_sgpr_dispatch_ptr 0
		.amdhsa_user_sgpr_queue_ptr 0
		.amdhsa_user_sgpr_kernarg_segment_ptr 1
		.amdhsa_user_sgpr_dispatch_id 0
		.amdhsa_user_sgpr_kernarg_preload_length 0
		.amdhsa_user_sgpr_kernarg_preload_offset 0
		.amdhsa_user_sgpr_private_segment_size 0
		.amdhsa_uses_dynamic_stack 0
		.amdhsa_enable_private_segment 0
		.amdhsa_system_sgpr_workgroup_id_x 1
		.amdhsa_system_sgpr_workgroup_id_y 1
		.amdhsa_system_sgpr_workgroup_id_z 1
		.amdhsa_system_sgpr_workgroup_info 0
		.amdhsa_system_vgpr_workitem_id 0
		.amdhsa_next_free_vgpr 19
		.amdhsa_next_free_sgpr 57
		.amdhsa_accum_offset 20
		.amdhsa_reserve_vcc 1
		.amdhsa_float_round_mode_32 0
		.amdhsa_float_round_mode_16_64 0
		.amdhsa_float_denorm_mode_32 3
		.amdhsa_float_denorm_mode_16_64 3
		.amdhsa_dx10_clamp 1
		.amdhsa_ieee_mode 1
		.amdhsa_fp16_overflow 0
		.amdhsa_tg_split 0
		.amdhsa_exception_fp_ieee_invalid_op 0
		.amdhsa_exception_fp_denorm_src 0
		.amdhsa_exception_fp_ieee_div_zero 0
		.amdhsa_exception_fp_ieee_overflow 0
		.amdhsa_exception_fp_ieee_underflow 0
		.amdhsa_exception_fp_ieee_inexact 0
		.amdhsa_exception_int_div_zero 0
	.end_amdhsa_kernel
	.section	.text._ZN2at6native12_GLOBAL__N_136reflection_pad3d_backward_out_kernelIdEEvN5torch10headeronly6detail27GenericPackedTensorAccessorINS5_14TensorAccessorIN3c108ArrayRefIlEET_Lm4ENS4_16DefaultPtrTraitsElEENS_6detail16IndexBoundsCheckILm5ElEESB_Lm5ESC_lEENS6_INS7_ISA_KSB_Lm4ESC_lEESG_SI_Lm5ESC_lEElllll,"axG",@progbits,_ZN2at6native12_GLOBAL__N_136reflection_pad3d_backward_out_kernelIdEEvN5torch10headeronly6detail27GenericPackedTensorAccessorINS5_14TensorAccessorIN3c108ArrayRefIlEET_Lm4ENS4_16DefaultPtrTraitsElEENS_6detail16IndexBoundsCheckILm5ElEESB_Lm5ESC_lEENS6_INS7_ISA_KSB_Lm4ESC_lEESG_SI_Lm5ESC_lEElllll,comdat
.Lfunc_end68:
	.size	_ZN2at6native12_GLOBAL__N_136reflection_pad3d_backward_out_kernelIdEEvN5torch10headeronly6detail27GenericPackedTensorAccessorINS5_14TensorAccessorIN3c108ArrayRefIlEET_Lm4ENS4_16DefaultPtrTraitsElEENS_6detail16IndexBoundsCheckILm5ElEESB_Lm5ESC_lEENS6_INS7_ISA_KSB_Lm4ESC_lEESG_SI_Lm5ESC_lEElllll, .Lfunc_end68-_ZN2at6native12_GLOBAL__N_136reflection_pad3d_backward_out_kernelIdEEvN5torch10headeronly6detail27GenericPackedTensorAccessorINS5_14TensorAccessorIN3c108ArrayRefIlEET_Lm4ENS4_16DefaultPtrTraitsElEENS_6detail16IndexBoundsCheckILm5ElEESB_Lm5ESC_lEENS6_INS7_ISA_KSB_Lm4ESC_lEESG_SI_Lm5ESC_lEElllll
                                        ; -- End function
	.set _ZN2at6native12_GLOBAL__N_136reflection_pad3d_backward_out_kernelIdEEvN5torch10headeronly6detail27GenericPackedTensorAccessorINS5_14TensorAccessorIN3c108ArrayRefIlEET_Lm4ENS4_16DefaultPtrTraitsElEENS_6detail16IndexBoundsCheckILm5ElEESB_Lm5ESC_lEENS6_INS7_ISA_KSB_Lm4ESC_lEESG_SI_Lm5ESC_lEElllll.num_vgpr, 19
	.set _ZN2at6native12_GLOBAL__N_136reflection_pad3d_backward_out_kernelIdEEvN5torch10headeronly6detail27GenericPackedTensorAccessorINS5_14TensorAccessorIN3c108ArrayRefIlEET_Lm4ENS4_16DefaultPtrTraitsElEENS_6detail16IndexBoundsCheckILm5ElEESB_Lm5ESC_lEENS6_INS7_ISA_KSB_Lm4ESC_lEESG_SI_Lm5ESC_lEElllll.num_agpr, 0
	.set _ZN2at6native12_GLOBAL__N_136reflection_pad3d_backward_out_kernelIdEEvN5torch10headeronly6detail27GenericPackedTensorAccessorINS5_14TensorAccessorIN3c108ArrayRefIlEET_Lm4ENS4_16DefaultPtrTraitsElEENS_6detail16IndexBoundsCheckILm5ElEESB_Lm5ESC_lEENS6_INS7_ISA_KSB_Lm4ESC_lEESG_SI_Lm5ESC_lEElllll.numbered_sgpr, 57
	.set _ZN2at6native12_GLOBAL__N_136reflection_pad3d_backward_out_kernelIdEEvN5torch10headeronly6detail27GenericPackedTensorAccessorINS5_14TensorAccessorIN3c108ArrayRefIlEET_Lm4ENS4_16DefaultPtrTraitsElEENS_6detail16IndexBoundsCheckILm5ElEESB_Lm5ESC_lEENS6_INS7_ISA_KSB_Lm4ESC_lEESG_SI_Lm5ESC_lEElllll.num_named_barrier, 0
	.set _ZN2at6native12_GLOBAL__N_136reflection_pad3d_backward_out_kernelIdEEvN5torch10headeronly6detail27GenericPackedTensorAccessorINS5_14TensorAccessorIN3c108ArrayRefIlEET_Lm4ENS4_16DefaultPtrTraitsElEENS_6detail16IndexBoundsCheckILm5ElEESB_Lm5ESC_lEENS6_INS7_ISA_KSB_Lm4ESC_lEESG_SI_Lm5ESC_lEElllll.private_seg_size, 0
	.set _ZN2at6native12_GLOBAL__N_136reflection_pad3d_backward_out_kernelIdEEvN5torch10headeronly6detail27GenericPackedTensorAccessorINS5_14TensorAccessorIN3c108ArrayRefIlEET_Lm4ENS4_16DefaultPtrTraitsElEENS_6detail16IndexBoundsCheckILm5ElEESB_Lm5ESC_lEENS6_INS7_ISA_KSB_Lm4ESC_lEESG_SI_Lm5ESC_lEElllll.uses_vcc, 1
	.set _ZN2at6native12_GLOBAL__N_136reflection_pad3d_backward_out_kernelIdEEvN5torch10headeronly6detail27GenericPackedTensorAccessorINS5_14TensorAccessorIN3c108ArrayRefIlEET_Lm4ENS4_16DefaultPtrTraitsElEENS_6detail16IndexBoundsCheckILm5ElEESB_Lm5ESC_lEENS6_INS7_ISA_KSB_Lm4ESC_lEESG_SI_Lm5ESC_lEElllll.uses_flat_scratch, 0
	.set _ZN2at6native12_GLOBAL__N_136reflection_pad3d_backward_out_kernelIdEEvN5torch10headeronly6detail27GenericPackedTensorAccessorINS5_14TensorAccessorIN3c108ArrayRefIlEET_Lm4ENS4_16DefaultPtrTraitsElEENS_6detail16IndexBoundsCheckILm5ElEESB_Lm5ESC_lEENS6_INS7_ISA_KSB_Lm4ESC_lEESG_SI_Lm5ESC_lEElllll.has_dyn_sized_stack, 0
	.set _ZN2at6native12_GLOBAL__N_136reflection_pad3d_backward_out_kernelIdEEvN5torch10headeronly6detail27GenericPackedTensorAccessorINS5_14TensorAccessorIN3c108ArrayRefIlEET_Lm4ENS4_16DefaultPtrTraitsElEENS_6detail16IndexBoundsCheckILm5ElEESB_Lm5ESC_lEENS6_INS7_ISA_KSB_Lm4ESC_lEESG_SI_Lm5ESC_lEElllll.has_recursion, 0
	.set _ZN2at6native12_GLOBAL__N_136reflection_pad3d_backward_out_kernelIdEEvN5torch10headeronly6detail27GenericPackedTensorAccessorINS5_14TensorAccessorIN3c108ArrayRefIlEET_Lm4ENS4_16DefaultPtrTraitsElEENS_6detail16IndexBoundsCheckILm5ElEESB_Lm5ESC_lEENS6_INS7_ISA_KSB_Lm4ESC_lEESG_SI_Lm5ESC_lEElllll.has_indirect_call, 0
	.section	.AMDGPU.csdata,"",@progbits
; Kernel info:
; codeLenInByte = 3648
; TotalNumSgprs: 63
; NumVgprs: 19
; NumAgprs: 0
; TotalNumVgprs: 19
; ScratchSize: 0
; MemoryBound: 0
; FloatMode: 240
; IeeeMode: 1
; LDSByteSize: 0 bytes/workgroup (compile time only)
; SGPRBlocks: 7
; VGPRBlocks: 2
; NumSGPRsForWavesPerEU: 63
; NumVGPRsForWavesPerEU: 19
; AccumOffset: 20
; Occupancy: 8
; WaveLimiterHint : 0
; COMPUTE_PGM_RSRC2:SCRATCH_EN: 0
; COMPUTE_PGM_RSRC2:USER_SGPR: 2
; COMPUTE_PGM_RSRC2:TRAP_HANDLER: 0
; COMPUTE_PGM_RSRC2:TGID_X_EN: 1
; COMPUTE_PGM_RSRC2:TGID_Y_EN: 1
; COMPUTE_PGM_RSRC2:TGID_Z_EN: 1
; COMPUTE_PGM_RSRC2:TIDIG_COMP_CNT: 0
; COMPUTE_PGM_RSRC3_GFX90A:ACCUM_OFFSET: 4
; COMPUTE_PGM_RSRC3_GFX90A:TG_SPLIT: 0
	.section	.text._ZN2at6native12_GLOBAL__N_136reflection_pad3d_backward_out_kernelIfEEvN5torch10headeronly6detail27GenericPackedTensorAccessorINS5_14TensorAccessorIN3c108ArrayRefIlEET_Lm4ENS4_16DefaultPtrTraitsElEENS_6detail16IndexBoundsCheckILm5ElEESB_Lm5ESC_lEENS6_INS7_ISA_KSB_Lm4ESC_lEESG_SI_Lm5ESC_lEElllll,"axG",@progbits,_ZN2at6native12_GLOBAL__N_136reflection_pad3d_backward_out_kernelIfEEvN5torch10headeronly6detail27GenericPackedTensorAccessorINS5_14TensorAccessorIN3c108ArrayRefIlEET_Lm4ENS4_16DefaultPtrTraitsElEENS_6detail16IndexBoundsCheckILm5ElEESB_Lm5ESC_lEENS6_INS7_ISA_KSB_Lm4ESC_lEESG_SI_Lm5ESC_lEElllll,comdat
	.globl	_ZN2at6native12_GLOBAL__N_136reflection_pad3d_backward_out_kernelIfEEvN5torch10headeronly6detail27GenericPackedTensorAccessorINS5_14TensorAccessorIN3c108ArrayRefIlEET_Lm4ENS4_16DefaultPtrTraitsElEENS_6detail16IndexBoundsCheckILm5ElEESB_Lm5ESC_lEENS6_INS7_ISA_KSB_Lm4ESC_lEESG_SI_Lm5ESC_lEElllll ; -- Begin function _ZN2at6native12_GLOBAL__N_136reflection_pad3d_backward_out_kernelIfEEvN5torch10headeronly6detail27GenericPackedTensorAccessorINS5_14TensorAccessorIN3c108ArrayRefIlEET_Lm4ENS4_16DefaultPtrTraitsElEENS_6detail16IndexBoundsCheckILm5ElEESB_Lm5ESC_lEENS6_INS7_ISA_KSB_Lm4ESC_lEESG_SI_Lm5ESC_lEElllll
	.p2align	8
	.type	_ZN2at6native12_GLOBAL__N_136reflection_pad3d_backward_out_kernelIfEEvN5torch10headeronly6detail27GenericPackedTensorAccessorINS5_14TensorAccessorIN3c108ArrayRefIlEET_Lm4ENS4_16DefaultPtrTraitsElEENS_6detail16IndexBoundsCheckILm5ElEESB_Lm5ESC_lEENS6_INS7_ISA_KSB_Lm4ESC_lEESG_SI_Lm5ESC_lEElllll,@function
_ZN2at6native12_GLOBAL__N_136reflection_pad3d_backward_out_kernelIfEEvN5torch10headeronly6detail27GenericPackedTensorAccessorINS5_14TensorAccessorIN3c108ArrayRefIlEET_Lm4ENS4_16DefaultPtrTraitsElEENS_6detail16IndexBoundsCheckILm5ElEESB_Lm5ESC_lEENS6_INS7_ISA_KSB_Lm4ESC_lEESG_SI_Lm5ESC_lEElllll: ; @_ZN2at6native12_GLOBAL__N_136reflection_pad3d_backward_out_kernelIfEEvN5torch10headeronly6detail27GenericPackedTensorAccessorINS5_14TensorAccessorIN3c108ArrayRefIlEET_Lm4ENS4_16DefaultPtrTraitsElEENS_6detail16IndexBoundsCheckILm5ElEESB_Lm5ESC_lEENS6_INS7_ISA_KSB_Lm4ESC_lEESG_SI_Lm5ESC_lEElllll
; %bb.0:
	s_load_dword s5, s[0:1], 0xe4
	s_load_dwordx4 s[8:11], s[0:1], 0x70
	s_load_dwordx2 s[34:35], s[0:1], 0x80
	v_mov_b32_e32 v2, 0
	v_mov_b32_e32 v1, v2
	s_waitcnt lgkmcnt(0)
	s_and_b32 s5, s5, 0xffff
	v_mov_b32_e32 v3, s2
	v_mad_u64_u32 v[0:1], s[6:7], s5, v3, v[0:1]
	s_mul_i32 s2, s34, s11
	s_mul_hi_u32 s5, s34, s10
	s_add_i32 s5, s5, s2
	s_mul_i32 s2, s35, s10
	s_add_i32 s5, s5, s2
	s_mul_i32 s2, s34, s10
	s_mul_i32 s6, s2, s9
	s_mul_hi_u32 s7, s2, s8
	s_add_i32 s6, s7, s6
	s_mul_i32 s7, s5, s8
	s_add_i32 s7, s6, s7
	s_mul_i32 s6, s2, s8
	v_cmp_gt_i64_e32 vcc, s[6:7], v[0:1]
	s_and_saveexec_b64 s[6:7], vcc
	s_cbranch_execz .LBB69_14
; %bb.1:
	v_or_b32_e32 v3, s35, v1
	v_cmp_ne_u64_e32 vcc, 0, v[2:3]
	v_ashrrev_i32_e32 v2, 31, v1
                                        ; implicit-def: $vgpr6_vgpr7
	s_and_saveexec_b64 s[6:7], vcc
	s_xor_b64 s[8:9], exec, s[6:7]
	s_cbranch_execz .LBB69_3
; %bb.2:
	s_ashr_i32 s12, s35, 31
	s_add_u32 s6, s34, s12
	s_mov_b32 s13, s12
	s_addc_u32 s7, s35, s12
	s_xor_b64 s[14:15], s[6:7], s[12:13]
	v_cvt_f32_u32_e32 v3, s14
	v_cvt_f32_u32_e32 v4, s15
	s_sub_u32 s13, 0, s14
	s_subb_u32 s16, 0, s15
	v_mov_b32_e32 v7, 0
	v_fmamk_f32 v3, v4, 0x4f800000, v3
	v_rcp_f32_e32 v3, v3
	s_nop 0
	v_mul_f32_e32 v3, 0x5f7ffffc, v3
	v_mul_f32_e32 v4, 0x2f800000, v3
	v_trunc_f32_e32 v4, v4
	v_fmamk_f32 v3, v4, 0xcf800000, v3
	v_cvt_u32_f32_e32 v4, v4
	v_cvt_u32_f32_e32 v3, v3
	v_readfirstlane_b32 s17, v4
	v_readfirstlane_b32 s6, v3
	s_mul_i32 s7, s13, s17
	s_mul_hi_u32 s19, s13, s6
	s_mul_i32 s18, s16, s6
	s_add_i32 s7, s19, s7
	s_add_i32 s7, s7, s18
	s_mul_i32 s20, s13, s6
	s_mul_i32 s19, s6, s7
	s_mul_hi_u32 s21, s6, s20
	s_mul_hi_u32 s18, s6, s7
	s_add_u32 s19, s21, s19
	s_addc_u32 s18, 0, s18
	s_mul_hi_u32 s22, s17, s20
	s_mul_i32 s20, s17, s20
	s_add_u32 s19, s19, s20
	s_mul_hi_u32 s21, s17, s7
	s_addc_u32 s18, s18, s22
	s_addc_u32 s19, s21, 0
	s_mul_i32 s7, s17, s7
	s_add_u32 s7, s18, s7
	s_addc_u32 s18, 0, s19
	s_add_u32 s19, s6, s7
	s_cselect_b64 s[6:7], -1, 0
	s_cmp_lg_u64 s[6:7], 0
	s_addc_u32 s17, s17, s18
	s_mul_i32 s6, s13, s17
	s_mul_hi_u32 s7, s13, s19
	s_add_i32 s6, s7, s6
	s_mul_i32 s16, s16, s19
	s_add_i32 s6, s6, s16
	s_mul_i32 s13, s13, s19
	s_mul_hi_u32 s16, s17, s13
	s_mul_i32 s18, s17, s13
	s_mul_i32 s21, s19, s6
	s_mul_hi_u32 s13, s19, s13
	s_mul_hi_u32 s20, s19, s6
	s_add_u32 s13, s13, s21
	s_addc_u32 s20, 0, s20
	s_add_u32 s13, s13, s18
	s_mul_hi_u32 s7, s17, s6
	s_addc_u32 s13, s20, s16
	s_addc_u32 s7, s7, 0
	s_mul_i32 s6, s17, s6
	s_add_u32 s6, s13, s6
	s_addc_u32 s13, 0, s7
	s_add_u32 s16, s19, s6
	s_cselect_b64 s[6:7], -1, 0
	v_mov_b32_e32 v3, v2
	s_cmp_lg_u64 s[6:7], 0
	v_lshl_add_u64 v[4:5], v[0:1], 0, v[2:3]
	s_addc_u32 s13, s17, s13
	v_xor_b32_e32 v12, v4, v2
	v_xor_b32_e32 v3, v5, v2
	v_mad_u64_u32 v[4:5], s[6:7], v12, s13, 0
	v_mul_hi_u32 v6, v12, s16
	v_lshl_add_u64 v[4:5], v[6:7], 0, v[4:5]
	v_mad_u64_u32 v[10:11], s[6:7], v3, s16, 0
	v_add_co_u32_e32 v4, vcc, v4, v10
	v_mad_u64_u32 v[8:9], s[6:7], v3, s13, 0
	s_nop 0
	v_addc_co_u32_e32 v6, vcc, v5, v11, vcc
	s_nop 1
	v_addc_co_u32_e32 v9, vcc, 0, v9, vcc
	v_lshl_add_u64 v[4:5], v[6:7], 0, v[8:9]
	v_mul_lo_u32 v8, s15, v4
	v_mul_lo_u32 v9, s14, v5
	v_mad_u64_u32 v[6:7], s[6:7], s14, v4, 0
	v_add3_u32 v10, v7, v9, v8
	v_sub_u32_e32 v7, v3, v10
	v_mov_b32_e32 v8, s15
	v_sub_co_u32_e32 v11, vcc, v12, v6
	s_nop 1
	v_subb_co_u32_e64 v6, s[6:7], v7, v8, vcc
	v_subrev_co_u32_e64 v7, s[6:7], s14, v11
	v_subb_co_u32_e32 v3, vcc, v3, v10, vcc
	s_nop 0
	v_subbrev_co_u32_e64 v6, s[6:7], 0, v6, s[6:7]
	v_cmp_le_u32_e64 s[6:7], s15, v6
	v_cmp_le_u32_e32 vcc, s15, v3
	s_nop 0
	v_cndmask_b32_e64 v8, 0, -1, s[6:7]
	v_cmp_le_u32_e64 s[6:7], s14, v7
	s_nop 1
	v_cndmask_b32_e64 v7, 0, -1, s[6:7]
	v_cmp_eq_u32_e64 s[6:7], s15, v6
	s_nop 1
	v_cndmask_b32_e64 v12, v8, v7, s[6:7]
	v_lshl_add_u64 v[6:7], v[4:5], 0, 2
	v_lshl_add_u64 v[8:9], v[4:5], 0, 1
	v_cmp_ne_u32_e64 s[6:7], 0, v12
	s_nop 1
	v_cndmask_b32_e64 v7, v9, v7, s[6:7]
	v_cndmask_b32_e64 v9, 0, -1, vcc
	v_cmp_le_u32_e32 vcc, s14, v11
	s_nop 1
	v_cndmask_b32_e64 v10, 0, -1, vcc
	v_cmp_eq_u32_e32 vcc, s15, v3
	s_nop 1
	v_cndmask_b32_e32 v3, v9, v10, vcc
	v_cmp_ne_u32_e32 vcc, 0, v3
	s_nop 1
	v_cndmask_b32_e32 v3, v5, v7, vcc
	v_cndmask_b32_e64 v5, v8, v6, s[6:7]
	v_cndmask_b32_e32 v4, v4, v5, vcc
	v_xor_b32_e32 v5, s12, v2
	v_xor_b32_e32 v4, v4, v5
	;; [unrolled: 1-line block ×3, first 2 shown]
	v_sub_co_u32_e32 v6, vcc, v4, v5
	s_nop 1
	v_subb_co_u32_e32 v7, vcc, v3, v5, vcc
.LBB69_3:
	s_andn2_saveexec_b64 s[6:7], s[8:9]
	s_cbranch_execz .LBB69_5
; %bb.4:
	v_cvt_f32_u32_e32 v3, s34
	s_sub_i32 s8, 0, s34
	v_mov_b32_e32 v7, 0
	v_rcp_iflag_f32_e32 v3, v3
	s_nop 0
	v_mul_f32_e32 v3, 0x4f7ffffe, v3
	v_cvt_u32_f32_e32 v3, v3
	v_mul_lo_u32 v4, s8, v3
	v_mul_hi_u32 v4, v3, v4
	v_add_u32_e32 v3, v3, v4
	v_mul_hi_u32 v3, v0, v3
	v_mul_lo_u32 v4, v3, s34
	v_sub_u32_e32 v4, v0, v4
	v_add_u32_e32 v5, 1, v3
	v_subrev_u32_e32 v6, s34, v4
	v_cmp_le_u32_e32 vcc, s34, v4
	s_nop 1
	v_cndmask_b32_e32 v4, v4, v6, vcc
	v_cndmask_b32_e32 v3, v3, v5, vcc
	v_add_u32_e32 v5, 1, v3
	v_cmp_le_u32_e32 vcc, s34, v4
	s_nop 1
	v_cndmask_b32_e32 v6, v3, v5, vcc
.LBB69_5:
	s_or_b64 exec, exec, s[6:7]
	v_or_b32_e32 v9, s11, v7
	v_mov_b32_e32 v8, 0
	v_cmp_ne_u64_e32 vcc, 0, v[8:9]
                                        ; implicit-def: $vgpr4_vgpr5
	s_and_saveexec_b64 s[6:7], vcc
	s_xor_b64 s[12:13], exec, s[6:7]
	s_cbranch_execz .LBB69_7
; %bb.6:
	s_ashr_i32 s6, s11, 31
	s_add_u32 s8, s10, s6
	s_mov_b32 s7, s6
	s_addc_u32 s9, s11, s6
	s_xor_b64 s[14:15], s[8:9], s[6:7]
	v_cvt_f32_u32_e32 v3, s14
	v_cvt_f32_u32_e32 v4, s15
	s_sub_u32 s8, 0, s14
	s_subb_u32 s9, 0, s15
	v_ashrrev_i32_e32 v10, 31, v7
	v_fmamk_f32 v3, v4, 0x4f800000, v3
	v_rcp_f32_e32 v3, v3
	v_mov_b32_e32 v11, v10
	v_mov_b32_e32 v13, v8
	v_mul_f32_e32 v3, 0x5f7ffffc, v3
	v_mul_f32_e32 v4, 0x2f800000, v3
	v_trunc_f32_e32 v4, v4
	v_fmamk_f32 v3, v4, 0xcf800000, v3
	v_cvt_u32_f32_e32 v4, v4
	v_cvt_u32_f32_e32 v3, v3
	v_readfirstlane_b32 s11, v4
	v_readfirstlane_b32 s6, v3
	s_mul_i32 s7, s8, s11
	s_mul_hi_u32 s17, s8, s6
	s_mul_i32 s16, s9, s6
	s_add_i32 s7, s17, s7
	s_add_i32 s7, s7, s16
	s_mul_i32 s18, s8, s6
	s_mul_i32 s17, s6, s7
	s_mul_hi_u32 s19, s6, s18
	s_mul_hi_u32 s16, s6, s7
	s_add_u32 s17, s19, s17
	s_addc_u32 s16, 0, s16
	s_mul_hi_u32 s20, s11, s18
	s_mul_i32 s18, s11, s18
	s_add_u32 s17, s17, s18
	s_mul_hi_u32 s19, s11, s7
	s_addc_u32 s16, s16, s20
	s_addc_u32 s17, s19, 0
	s_mul_i32 s7, s11, s7
	s_add_u32 s7, s16, s7
	s_addc_u32 s16, 0, s17
	s_add_u32 s17, s6, s7
	s_cselect_b64 s[6:7], -1, 0
	s_cmp_lg_u64 s[6:7], 0
	s_addc_u32 s11, s11, s16
	s_mul_i32 s6, s8, s11
	s_mul_hi_u32 s7, s8, s17
	s_add_i32 s6, s7, s6
	s_mul_i32 s9, s9, s17
	s_add_i32 s6, s6, s9
	s_mul_i32 s8, s8, s17
	s_mul_hi_u32 s9, s11, s8
	s_mul_i32 s16, s11, s8
	s_mul_i32 s19, s17, s6
	s_mul_hi_u32 s8, s17, s8
	s_mul_hi_u32 s18, s17, s6
	s_add_u32 s8, s8, s19
	s_addc_u32 s18, 0, s18
	s_add_u32 s8, s8, s16
	s_mul_hi_u32 s7, s11, s6
	s_addc_u32 s8, s18, s9
	s_addc_u32 s7, s7, 0
	s_mul_i32 s6, s11, s6
	s_add_u32 s6, s8, s6
	s_addc_u32 s8, 0, s7
	s_add_u32 s9, s17, s6
	s_cselect_b64 s[6:7], -1, 0
	s_cmp_lg_u64 s[6:7], 0
	v_lshl_add_u64 v[4:5], v[6:7], 0, v[10:11]
	s_addc_u32 s8, s11, s8
	v_xor_b32_e32 v9, v4, v10
	v_xor_b32_e32 v3, v5, v10
	v_mad_u64_u32 v[4:5], s[6:7], v9, s8, 0
	v_mul_hi_u32 v12, v9, s9
	v_lshl_add_u64 v[4:5], v[12:13], 0, v[4:5]
	v_mad_u64_u32 v[14:15], s[6:7], v3, s9, 0
	v_add_co_u32_e32 v4, vcc, v4, v14
	v_mad_u64_u32 v[12:13], s[6:7], v3, s8, 0
	s_nop 0
	v_addc_co_u32_e32 v4, vcc, v5, v15, vcc
	v_mov_b32_e32 v5, v8
	s_nop 0
	v_addc_co_u32_e32 v13, vcc, 0, v13, vcc
	v_lshl_add_u64 v[4:5], v[4:5], 0, v[12:13]
	v_mul_lo_u32 v8, s15, v4
	v_mul_lo_u32 v11, s14, v5
	v_mad_u64_u32 v[4:5], s[6:7], s14, v4, 0
	v_add3_u32 v5, v5, v11, v8
	v_sub_u32_e32 v8, v3, v5
	v_mov_b32_e32 v11, s15
	v_sub_co_u32_e32 v4, vcc, v9, v4
	s_nop 1
	v_subb_co_u32_e64 v8, s[6:7], v8, v11, vcc
	v_subrev_co_u32_e64 v9, s[6:7], s14, v4
	v_subb_co_u32_e32 v3, vcc, v3, v5, vcc
	s_nop 0
	v_subbrev_co_u32_e64 v12, s[8:9], 0, v8, s[6:7]
	v_cmp_le_u32_e64 s[8:9], s15, v12
	v_subb_co_u32_e64 v8, s[6:7], v8, v11, s[6:7]
	s_nop 0
	v_cndmask_b32_e64 v13, 0, -1, s[8:9]
	v_cmp_le_u32_e64 s[8:9], s14, v9
	v_subrev_co_u32_e64 v11, s[6:7], s14, v9
	s_nop 0
	v_cndmask_b32_e64 v14, 0, -1, s[8:9]
	v_cmp_eq_u32_e64 s[8:9], s15, v12
	v_subbrev_co_u32_e64 v8, s[6:7], 0, v8, s[6:7]
	s_nop 0
	v_cndmask_b32_e64 v13, v13, v14, s[8:9]
	v_cmp_le_u32_e32 vcc, s15, v3
	v_cmp_ne_u32_e64 s[6:7], 0, v13
	s_nop 0
	v_cndmask_b32_e64 v5, 0, -1, vcc
	v_cmp_le_u32_e32 vcc, s14, v4
	v_cndmask_b32_e64 v8, v12, v8, s[6:7]
	s_nop 0
	v_cndmask_b32_e64 v12, 0, -1, vcc
	v_cmp_eq_u32_e32 vcc, s15, v3
	s_nop 1
	v_cndmask_b32_e32 v5, v5, v12, vcc
	v_cmp_ne_u32_e32 vcc, 0, v5
	v_cndmask_b32_e64 v5, v9, v11, s[6:7]
	s_nop 0
	v_cndmask_b32_e32 v4, v4, v5, vcc
	v_cndmask_b32_e32 v3, v3, v8, vcc
	v_xor_b32_e32 v4, v4, v10
	v_xor_b32_e32 v3, v3, v10
	v_sub_co_u32_e32 v4, vcc, v4, v10
	s_nop 1
	v_subb_co_u32_e32 v5, vcc, v3, v10, vcc
.LBB69_7:
	s_or_saveexec_b64 s[6:7], s[12:13]
	s_load_dwordx2 s[46:47], s[0:1], 0xa8
	s_load_dwordx8 s[24:31], s[0:1], 0x88
	s_xor_b64 exec, exec, s[6:7]
	s_cbranch_execz .LBB69_9
; %bb.8:
	v_cvt_f32_u32_e32 v3, s10
	s_sub_i32 s8, 0, s10
	v_mov_b32_e32 v5, 0
	v_rcp_iflag_f32_e32 v3, v3
	s_nop 0
	v_mul_f32_e32 v3, 0x4f7ffffe, v3
	v_cvt_u32_f32_e32 v3, v3
	v_mul_lo_u32 v4, s8, v3
	v_mul_hi_u32 v4, v3, v4
	v_add_u32_e32 v3, v3, v4
	v_mul_hi_u32 v3, v6, v3
	v_mul_lo_u32 v3, v3, s10
	v_sub_u32_e32 v3, v6, v3
	v_subrev_u32_e32 v4, s10, v3
	v_cmp_le_u32_e32 vcc, s10, v3
	s_nop 1
	v_cndmask_b32_e32 v3, v3, v4, vcc
	v_subrev_u32_e32 v4, s10, v3
	v_cmp_le_u32_e32 vcc, s10, v3
	s_nop 1
	v_cndmask_b32_e32 v4, v3, v4, vcc
.LBB69_9:
	s_or_b64 exec, exec, s[6:7]
	s_load_dwordx2 s[48:49], s[0:1], 0x58
	s_load_dwordx2 s[44:45], s[0:1], 0x0
	v_or_b32_e32 v11, s5, v1
	v_mov_b32_e32 v10, 0
	v_cmp_ne_u64_e32 vcc, 0, v[10:11]
                                        ; implicit-def: $vgpr8_vgpr9
	s_and_saveexec_b64 s[6:7], vcc
	s_xor_b64 s[8:9], exec, s[6:7]
	s_cbranch_execz .LBB69_11
; %bb.10:
	s_ashr_i32 s10, s5, 31
	s_add_u32 s6, s2, s10
	s_mov_b32 s11, s10
	s_addc_u32 s7, s5, s10
	s_xor_b64 s[12:13], s[6:7], s[10:11]
	v_cvt_f32_u32_e32 v3, s12
	v_cvt_f32_u32_e32 v8, s13
	s_sub_u32 s5, 0, s12
	s_subb_u32 s11, 0, s13
	v_mov_b32_e32 v13, v10
	v_fmamk_f32 v3, v8, 0x4f800000, v3
	v_rcp_f32_e32 v3, v3
	s_nop 0
	v_mul_f32_e32 v3, 0x5f7ffffc, v3
	v_mul_f32_e32 v8, 0x2f800000, v3
	v_trunc_f32_e32 v8, v8
	v_fmamk_f32 v3, v8, 0xcf800000, v3
	v_cvt_u32_f32_e32 v8, v8
	v_cvt_u32_f32_e32 v3, v3
	v_readfirstlane_b32 s14, v8
	v_readfirstlane_b32 s6, v3
	s_mul_i32 s7, s5, s14
	s_mul_hi_u32 s16, s5, s6
	s_mul_i32 s15, s11, s6
	s_add_i32 s7, s16, s7
	s_add_i32 s7, s7, s15
	s_mul_i32 s17, s5, s6
	s_mul_i32 s16, s6, s7
	s_mul_hi_u32 s18, s6, s17
	s_mul_hi_u32 s15, s6, s7
	s_add_u32 s16, s18, s16
	s_addc_u32 s15, 0, s15
	s_mul_hi_u32 s19, s14, s17
	s_mul_i32 s17, s14, s17
	s_add_u32 s16, s16, s17
	s_mul_hi_u32 s18, s14, s7
	s_addc_u32 s15, s15, s19
	s_addc_u32 s16, s18, 0
	s_mul_i32 s7, s14, s7
	s_add_u32 s7, s15, s7
	s_addc_u32 s15, 0, s16
	s_add_u32 s16, s6, s7
	s_cselect_b64 s[6:7], -1, 0
	s_cmp_lg_u64 s[6:7], 0
	s_addc_u32 s14, s14, s15
	s_mul_i32 s6, s5, s14
	s_mul_hi_u32 s7, s5, s16
	s_add_i32 s6, s7, s6
	s_mul_i32 s11, s11, s16
	s_add_i32 s6, s6, s11
	s_mul_i32 s5, s5, s16
	s_mul_hi_u32 s11, s14, s5
	s_mul_i32 s15, s14, s5
	s_mul_i32 s18, s16, s6
	s_mul_hi_u32 s5, s16, s5
	s_mul_hi_u32 s17, s16, s6
	s_add_u32 s5, s5, s18
	s_addc_u32 s17, 0, s17
	s_add_u32 s5, s5, s15
	s_mul_hi_u32 s7, s14, s6
	s_addc_u32 s5, s17, s11
	s_addc_u32 s7, s7, 0
	s_mul_i32 s6, s14, s6
	s_add_u32 s5, s5, s6
	s_addc_u32 s11, 0, s7
	s_add_u32 s5, s16, s5
	s_cselect_b64 s[6:7], -1, 0
	v_mov_b32_e32 v3, v2
	s_cmp_lg_u64 s[6:7], 0
	v_lshl_add_u64 v[8:9], v[0:1], 0, v[2:3]
	s_addc_u32 s11, s14, s11
	v_xor_b32_e32 v16, v8, v2
	v_xor_b32_e32 v3, v9, v2
	v_mad_u64_u32 v[8:9], s[6:7], v16, s11, 0
	v_mul_hi_u32 v12, v16, s5
	v_lshl_add_u64 v[8:9], v[12:13], 0, v[8:9]
	v_mad_u64_u32 v[14:15], s[6:7], v3, s5, 0
	v_add_co_u32_e32 v8, vcc, v8, v14
	v_mad_u64_u32 v[12:13], s[6:7], v3, s11, 0
	s_nop 0
	v_addc_co_u32_e32 v8, vcc, v9, v15, vcc
	v_mov_b32_e32 v9, v10
	s_nop 0
	v_addc_co_u32_e32 v13, vcc, 0, v13, vcc
	v_lshl_add_u64 v[8:9], v[8:9], 0, v[12:13]
	v_mul_lo_u32 v12, s13, v8
	v_mul_lo_u32 v13, s12, v9
	v_mad_u64_u32 v[10:11], s[6:7], s12, v8, 0
	v_add3_u32 v14, v11, v13, v12
	v_sub_u32_e32 v11, v3, v14
	v_mov_b32_e32 v12, s13
	v_sub_co_u32_e32 v15, vcc, v16, v10
	v_xor_b32_e32 v2, s10, v2
	s_nop 0
	v_subb_co_u32_e64 v10, s[6:7], v11, v12, vcc
	v_subrev_co_u32_e64 v11, s[6:7], s12, v15
	v_subb_co_u32_e32 v3, vcc, v3, v14, vcc
	s_nop 0
	v_subbrev_co_u32_e64 v10, s[6:7], 0, v10, s[6:7]
	v_cmp_le_u32_e64 s[6:7], s13, v10
	v_cmp_le_u32_e32 vcc, s13, v3
	s_nop 0
	v_cndmask_b32_e64 v12, 0, -1, s[6:7]
	v_cmp_le_u32_e64 s[6:7], s12, v11
	s_nop 1
	v_cndmask_b32_e64 v11, 0, -1, s[6:7]
	v_cmp_eq_u32_e64 s[6:7], s13, v10
	s_nop 1
	v_cndmask_b32_e64 v16, v12, v11, s[6:7]
	v_lshl_add_u64 v[10:11], v[8:9], 0, 2
	v_lshl_add_u64 v[12:13], v[8:9], 0, 1
	v_cmp_ne_u32_e64 s[6:7], 0, v16
	s_nop 1
	v_cndmask_b32_e64 v11, v13, v11, s[6:7]
	v_cndmask_b32_e64 v13, 0, -1, vcc
	v_cmp_le_u32_e32 vcc, s12, v15
	s_nop 1
	v_cndmask_b32_e64 v14, 0, -1, vcc
	v_cmp_eq_u32_e32 vcc, s13, v3
	s_nop 1
	v_cndmask_b32_e32 v3, v13, v14, vcc
	v_cmp_ne_u32_e32 vcc, 0, v3
	s_nop 1
	v_cndmask_b32_e32 v3, v9, v11, vcc
	v_cndmask_b32_e64 v9, v12, v10, s[6:7]
	v_cndmask_b32_e32 v8, v8, v9, vcc
	v_xor_b32_e32 v8, v8, v2
	v_xor_b32_e32 v3, v3, v2
	v_sub_co_u32_e32 v8, vcc, v8, v2
	s_nop 1
	v_subb_co_u32_e32 v9, vcc, v3, v2, vcc
.LBB69_11:
	s_or_saveexec_b64 s[6:7], s[8:9]
	s_load_dwordx16 s[8:23], s[0:1], 0x18
	s_xor_b64 exec, exec, s[6:7]
	s_cbranch_execz .LBB69_13
; %bb.12:
	v_cvt_f32_u32_e32 v2, s2
	s_sub_i32 s5, 0, s2
	v_rcp_iflag_f32_e32 v2, v2
	s_nop 0
	v_mul_f32_e32 v2, 0x4f7ffffe, v2
	v_cvt_u32_f32_e32 v2, v2
	v_mul_lo_u32 v3, s5, v2
	v_mul_hi_u32 v3, v2, v3
	v_add_u32_e32 v2, v2, v3
	v_mul_hi_u32 v2, v0, v2
	v_mul_lo_u32 v3, v2, s2
	v_sub_u32_e32 v3, v0, v3
	v_add_u32_e32 v8, 1, v2
	v_subrev_u32_e32 v9, s2, v3
	v_cmp_le_u32_e32 vcc, s2, v3
	s_nop 1
	v_cndmask_b32_e32 v3, v3, v9, vcc
	v_cndmask_b32_e32 v2, v2, v8, vcc
	v_add_u32_e32 v8, 1, v2
	v_cmp_le_u32_e32 vcc, s2, v3
	v_mov_b32_e32 v9, 0
	s_nop 0
	v_cndmask_b32_e32 v8, v2, v8, vcc
.LBB69_13:
	s_or_b64 exec, exec, s[6:7]
	s_load_dwordx8 s[36:43], s[0:1], 0xb0
	v_mad_u64_u32 v[2:3], s[6:7], v6, s34, 0
	v_mul_lo_u32 v7, v7, s34
	v_mul_lo_u32 v10, v6, s35
	s_waitcnt lgkmcnt(0)
	s_sub_u32 s6, 0, s36
	s_subb_u32 s7, 0, s37
	s_sub_u32 s34, 0, s38
	s_subb_u32 s35, 0, s39
	;; [unrolled: 2-line block ×3, first 2 shown]
	v_cmp_gt_i64_e64 s[52:53], s[6:7], 0
	s_and_b64 s[52:53], s[52:53], exec
	s_cselect_b32 s2, s7, 0
	s_cselect_b32 s5, s6, 0
	v_cmp_gt_i64_e64 s[6:7], s[36:37], 0
	s_and_b64 s[6:7], s[6:7], exec
	v_cmp_gt_i64_e64 s[6:7], s[34:35], 0
	s_cselect_b32 s53, s37, 0
	s_cselect_b32 s52, s36, 0
	s_and_b64 s[6:7], s[6:7], exec
	v_add3_u32 v3, v3, v10, v7
	v_sub_co_u32_e32 v0, vcc, v0, v2
	v_cmp_gt_i64_e64 s[6:7], s[38:39], 0
	s_nop 0
	v_subb_co_u32_e32 v1, vcc, v1, v3, vcc
	s_cselect_b32 s33, s35, 0
	s_cselect_b32 s54, s34, 0
	s_and_b64 s[6:7], s[6:7], exec
	v_cmp_gt_i64_e64 s[6:7], s[50:51], 0
	v_mov_b32_e32 v2, s37
	v_subrev_co_u32_e32 v3, vcc, s36, v0
	s_cselect_b32 s35, s39, 0
	s_cselect_b32 s34, s38, 0
	s_and_b64 s[6:7], s[6:7], exec
	v_subb_co_u32_e32 v2, vcc, v1, v2, vcc
	v_cmp_gt_i64_e64 s[6:7], s[40:41], 0
	v_ashrrev_i32_e32 v6, 31, v2
	s_cselect_b32 s55, s51, 0
	s_cselect_b32 s56, s50, 0
	s_and_b64 s[6:7], s[6:7], exec
	v_xor_b32_e32 v7, v2, v6
	v_xor_b32_e32 v2, v3, v6
	s_cselect_b32 s7, s41, 0
	s_cselect_b32 s6, s40, 0
	v_sub_co_u32_e32 v2, vcc, v2, v6
	s_add_u32 s50, s36, s12
	s_nop 0
	v_subb_co_u32_e32 v3, vcc, v7, v6, vcc
	s_addc_u32 s51, s37, s13
	v_mov_b32_e32 v7, s51
	v_subrev_co_u32_e32 v6, vcc, s50, v0
	s_lshl_b64 s[36:37], s[36:37], 1
	s_nop 0
	v_subb_co_u32_e32 v7, vcc, v1, v7, vcc
	s_not_b64 s[50:51], s[52:53]
	v_lshl_add_u64 v[6:7], v[6:7], 0, 1
	s_add_u32 s36, s36, s50
	v_ashrrev_i32_e32 v10, 31, v7
	s_addc_u32 s37, s37, s51
	v_xor_b32_e32 v6, v6, v10
	s_add_u32 s5, s36, s5
	v_xor_b32_e32 v7, v7, v10
	v_sub_co_u32_e32 v6, vcc, v6, v10
	s_addc_u32 s2, s37, s2
	s_nop 0
	v_subb_co_u32_e32 v7, vcc, v7, v10, vcc
	s_add_u32 s5, s5, s12
	s_addc_u32 s2, s2, s13
	v_lshl_add_u64 v[6:7], v[0:1], 0, v[6:7]
	v_mov_b32_e32 v10, s2
	v_sub_co_u32_e32 v6, vcc, s5, v6
	s_add_u32 s2, s38, s10
	s_nop 0
	v_subb_co_u32_e32 v7, vcc, v10, v7, vcc
	v_lshl_add_u64 v[2:3], v[6:7], 0, v[2:3]
	v_mov_b32_e32 v6, s39
	v_subrev_co_u32_e32 v7, vcc, s38, v4
	s_addc_u32 s5, s39, s11
	s_nop 0
	v_subb_co_u32_e32 v6, vcc, v5, v6, vcc
	v_ashrrev_i32_e32 v10, 31, v6
	v_xor_b32_e32 v11, v6, v10
	v_xor_b32_e32 v6, v7, v10
	v_sub_co_u32_e32 v6, vcc, v6, v10
	s_lshl_b64 s[12:13], s[38:39], 1
	s_nop 0
	v_subb_co_u32_e32 v7, vcc, v11, v10, vcc
	s_not_b64 s[34:35], s[34:35]
	v_subrev_co_u32_e32 v10, vcc, s2, v4
	s_add_u32 s2, s12, s34
	v_mov_b32_e32 v11, s5
	s_addc_u32 s5, s13, s35
	s_add_u32 s2, s2, s54
	s_addc_u32 s5, s5, s33
	s_add_u32 s12, s2, s10
	;; [unrolled: 2-line block ×3, first 2 shown]
	s_addc_u32 s33, s41, s9
	s_lshl_b64 s[10:11], s[40:41], 1
	s_not_b64 s[6:7], s[6:7]
	s_add_u32 s2, s10, s6
	s_addc_u32 s6, s11, s7
	s_add_u32 s2, s2, s56
	s_load_dwordx2 s[0:1], s[0:1], 0xd0
	s_addc_u32 s6, s6, s55
	s_add_u32 s7, s2, s8
	s_addc_u32 s6, s6, s9
	s_add_u32 s8, s42, s3
	s_addc_u32 s9, s43, 0
	s_waitcnt lgkmcnt(0)
	s_add_u32 s4, s0, s4
	s_addc_u32 s10, s1, 0
	s_mul_i32 s0, s24, s10
	s_mul_hi_u32 s1, s24, s4
	s_add_i32 s0, s1, s0
	s_mul_i32 s1, s25, s4
	s_add_i32 s1, s0, s1
	s_mul_i32 s0, s24, s4
	s_lshl_b64 s[0:1], s[0:1], 2
	s_add_u32 s2, s48, s0
	s_addc_u32 s3, s49, s1
	s_mul_i32 s0, s26, s9
	s_mul_hi_u32 s1, s26, s8
	s_add_i32 s0, s1, s0
	s_mul_i32 s1, s27, s8
	v_subb_co_u32_e32 v11, vcc, v5, v11, vcc
	s_add_i32 s1, s0, s1
	s_mul_i32 s0, s26, s8
	v_lshl_add_u64 v[10:11], v[10:11], 0, 1
	s_lshl_b64 s[0:1], s[0:1], 2
	v_ashrrev_i32_e32 v14, 31, v11
	s_add_u32 s0, s2, s0
	v_xor_b32_e32 v15, v11, v14
	v_xor_b32_e32 v16, v10, v14
	s_addc_u32 s1, s3, s1
	v_mul_lo_u32 v12, v9, s28
	v_mul_lo_u32 v13, v8, s29
	v_mad_u64_u32 v[10:11], s[2:3], v8, s28, 0
	v_add3_u32 v11, v11, v13, v12
	v_lshl_add_u64 v[10:11], v[10:11], 2, s[0:1]
	v_mul_lo_u32 v17, v5, s30
	v_mul_lo_u32 v18, v4, s31
	v_mad_u64_u32 v[12:13], s[0:1], v4, s30, 0
	v_add3_u32 v13, v13, v18, v17
	v_lshl_add_u64 v[10:11], v[12:13], 2, v[10:11]
	;; [unrolled: 5-line block ×3, first 2 shown]
	global_load_dword v10, v[0:1], off
	v_sub_co_u32_e32 v0, vcc, v16, v14
	s_mul_i32 s0, s14, s10
	s_nop 0
	v_subb_co_u32_e32 v1, vcc, v15, v14, vcc
	v_lshl_add_u64 v[0:1], v[4:5], 0, v[0:1]
	v_mov_b32_e32 v4, s5
	v_sub_co_u32_e32 v0, vcc, s12, v0
	s_mul_hi_u32 s1, s14, s4
	s_nop 0
	v_subb_co_u32_e32 v1, vcc, v4, v1, vcc
	v_mov_b32_e32 v4, s41
	v_subrev_co_u32_e32 v5, vcc, s40, v8
	v_lshl_add_u64 v[0:1], v[0:1], 0, v[6:7]
	s_nop 0
	v_subb_co_u32_e32 v4, vcc, v9, v4, vcc
	v_ashrrev_i32_e32 v6, 31, v4
	v_xor_b32_e32 v7, v4, v6
	v_xor_b32_e32 v4, v5, v6
	v_sub_co_u32_e32 v4, vcc, v4, v6
	s_add_i32 s0, s1, s0
	s_nop 0
	v_subb_co_u32_e32 v5, vcc, v7, v6, vcc
	v_mov_b32_e32 v7, s33
	v_subrev_co_u32_e32 v6, vcc, s13, v8
	s_mul_i32 s1, s15, s4
	s_nop 0
	v_subb_co_u32_e32 v7, vcc, v9, v7, vcc
	v_lshl_add_u64 v[6:7], v[6:7], 0, 1
	v_ashrrev_i32_e32 v11, 31, v7
	s_add_i32 s1, s0, s1
	s_mul_i32 s0, s14, s4
	v_xor_b32_e32 v6, v6, v11
	s_lshl_b64 s[0:1], s[0:1], 2
	v_xor_b32_e32 v7, v7, v11
	v_sub_co_u32_e32 v6, vcc, v6, v11
	s_add_u32 s2, s44, s0
	s_nop 0
	v_subb_co_u32_e32 v7, vcc, v7, v11, vcc
	s_addc_u32 s3, s45, s1
	s_mul_i32 s0, s16, s9
	s_mul_hi_u32 s1, s16, s8
	v_lshl_add_u64 v[6:7], v[8:9], 0, v[6:7]
	s_add_i32 s0, s1, s0
	s_mul_i32 s1, s17, s8
	v_mov_b32_e32 v8, s6
	v_sub_co_u32_e32 v6, vcc, s7, v6
	s_add_i32 s1, s0, s1
	s_mul_i32 s0, s16, s8
	v_subb_co_u32_e32 v7, vcc, v8, v7, vcc
	s_lshl_b64 s[0:1], s[0:1], 2
	v_lshl_add_u64 v[4:5], v[6:7], 0, v[4:5]
	s_add_u32 s0, s2, s0
	s_addc_u32 s1, s3, s1
	v_mul_lo_u32 v6, v5, s18
	v_mul_lo_u32 v7, v4, s19
	v_mad_u64_u32 v[4:5], s[2:3], v4, s18, 0
	v_add3_u32 v5, v5, v7, v6
	v_lshl_add_u64 v[4:5], v[4:5], 2, s[0:1]
	v_mul_lo_u32 v6, v1, s20
	v_mul_lo_u32 v7, v0, s21
	v_mad_u64_u32 v[0:1], s[0:1], v0, s20, 0
	v_add3_u32 v1, v1, v7, v6
	v_lshl_add_u64 v[0:1], v[0:1], 2, v[4:5]
	;; [unrolled: 5-line block ×3, first 2 shown]
	s_waitcnt vmcnt(0)
	global_atomic_add_f32 v[0:1], v10, off
.LBB69_14:
	s_endpgm
	.section	.rodata,"a",@progbits
	.p2align	6, 0x0
	.amdhsa_kernel _ZN2at6native12_GLOBAL__N_136reflection_pad3d_backward_out_kernelIfEEvN5torch10headeronly6detail27GenericPackedTensorAccessorINS5_14TensorAccessorIN3c108ArrayRefIlEET_Lm4ENS4_16DefaultPtrTraitsElEENS_6detail16IndexBoundsCheckILm5ElEESB_Lm5ESC_lEENS6_INS7_ISA_KSB_Lm4ESC_lEESG_SI_Lm5ESC_lEElllll
		.amdhsa_group_segment_fixed_size 0
		.amdhsa_private_segment_fixed_size 0
		.amdhsa_kernarg_size 472
		.amdhsa_user_sgpr_count 2
		.amdhsa_user_sgpr_dispatch_ptr 0
		.amdhsa_user_sgpr_queue_ptr 0
		.amdhsa_user_sgpr_kernarg_segment_ptr 1
		.amdhsa_user_sgpr_dispatch_id 0
		.amdhsa_user_sgpr_kernarg_preload_length 0
		.amdhsa_user_sgpr_kernarg_preload_offset 0
		.amdhsa_user_sgpr_private_segment_size 0
		.amdhsa_uses_dynamic_stack 0
		.amdhsa_enable_private_segment 0
		.amdhsa_system_sgpr_workgroup_id_x 1
		.amdhsa_system_sgpr_workgroup_id_y 1
		.amdhsa_system_sgpr_workgroup_id_z 1
		.amdhsa_system_sgpr_workgroup_info 0
		.amdhsa_system_vgpr_workitem_id 0
		.amdhsa_next_free_vgpr 19
		.amdhsa_next_free_sgpr 57
		.amdhsa_accum_offset 20
		.amdhsa_reserve_vcc 1
		.amdhsa_float_round_mode_32 0
		.amdhsa_float_round_mode_16_64 0
		.amdhsa_float_denorm_mode_32 3
		.amdhsa_float_denorm_mode_16_64 3
		.amdhsa_dx10_clamp 1
		.amdhsa_ieee_mode 1
		.amdhsa_fp16_overflow 0
		.amdhsa_tg_split 0
		.amdhsa_exception_fp_ieee_invalid_op 0
		.amdhsa_exception_fp_denorm_src 0
		.amdhsa_exception_fp_ieee_div_zero 0
		.amdhsa_exception_fp_ieee_overflow 0
		.amdhsa_exception_fp_ieee_underflow 0
		.amdhsa_exception_fp_ieee_inexact 0
		.amdhsa_exception_int_div_zero 0
	.end_amdhsa_kernel
	.section	.text._ZN2at6native12_GLOBAL__N_136reflection_pad3d_backward_out_kernelIfEEvN5torch10headeronly6detail27GenericPackedTensorAccessorINS5_14TensorAccessorIN3c108ArrayRefIlEET_Lm4ENS4_16DefaultPtrTraitsElEENS_6detail16IndexBoundsCheckILm5ElEESB_Lm5ESC_lEENS6_INS7_ISA_KSB_Lm4ESC_lEESG_SI_Lm5ESC_lEElllll,"axG",@progbits,_ZN2at6native12_GLOBAL__N_136reflection_pad3d_backward_out_kernelIfEEvN5torch10headeronly6detail27GenericPackedTensorAccessorINS5_14TensorAccessorIN3c108ArrayRefIlEET_Lm4ENS4_16DefaultPtrTraitsElEENS_6detail16IndexBoundsCheckILm5ElEESB_Lm5ESC_lEENS6_INS7_ISA_KSB_Lm4ESC_lEESG_SI_Lm5ESC_lEElllll,comdat
.Lfunc_end69:
	.size	_ZN2at6native12_GLOBAL__N_136reflection_pad3d_backward_out_kernelIfEEvN5torch10headeronly6detail27GenericPackedTensorAccessorINS5_14TensorAccessorIN3c108ArrayRefIlEET_Lm4ENS4_16DefaultPtrTraitsElEENS_6detail16IndexBoundsCheckILm5ElEESB_Lm5ESC_lEENS6_INS7_ISA_KSB_Lm4ESC_lEESG_SI_Lm5ESC_lEElllll, .Lfunc_end69-_ZN2at6native12_GLOBAL__N_136reflection_pad3d_backward_out_kernelIfEEvN5torch10headeronly6detail27GenericPackedTensorAccessorINS5_14TensorAccessorIN3c108ArrayRefIlEET_Lm4ENS4_16DefaultPtrTraitsElEENS_6detail16IndexBoundsCheckILm5ElEESB_Lm5ESC_lEENS6_INS7_ISA_KSB_Lm4ESC_lEESG_SI_Lm5ESC_lEElllll
                                        ; -- End function
	.set _ZN2at6native12_GLOBAL__N_136reflection_pad3d_backward_out_kernelIfEEvN5torch10headeronly6detail27GenericPackedTensorAccessorINS5_14TensorAccessorIN3c108ArrayRefIlEET_Lm4ENS4_16DefaultPtrTraitsElEENS_6detail16IndexBoundsCheckILm5ElEESB_Lm5ESC_lEENS6_INS7_ISA_KSB_Lm4ESC_lEESG_SI_Lm5ESC_lEElllll.num_vgpr, 19
	.set _ZN2at6native12_GLOBAL__N_136reflection_pad3d_backward_out_kernelIfEEvN5torch10headeronly6detail27GenericPackedTensorAccessorINS5_14TensorAccessorIN3c108ArrayRefIlEET_Lm4ENS4_16DefaultPtrTraitsElEENS_6detail16IndexBoundsCheckILm5ElEESB_Lm5ESC_lEENS6_INS7_ISA_KSB_Lm4ESC_lEESG_SI_Lm5ESC_lEElllll.num_agpr, 0
	.set _ZN2at6native12_GLOBAL__N_136reflection_pad3d_backward_out_kernelIfEEvN5torch10headeronly6detail27GenericPackedTensorAccessorINS5_14TensorAccessorIN3c108ArrayRefIlEET_Lm4ENS4_16DefaultPtrTraitsElEENS_6detail16IndexBoundsCheckILm5ElEESB_Lm5ESC_lEENS6_INS7_ISA_KSB_Lm4ESC_lEESG_SI_Lm5ESC_lEElllll.numbered_sgpr, 57
	.set _ZN2at6native12_GLOBAL__N_136reflection_pad3d_backward_out_kernelIfEEvN5torch10headeronly6detail27GenericPackedTensorAccessorINS5_14TensorAccessorIN3c108ArrayRefIlEET_Lm4ENS4_16DefaultPtrTraitsElEENS_6detail16IndexBoundsCheckILm5ElEESB_Lm5ESC_lEENS6_INS7_ISA_KSB_Lm4ESC_lEESG_SI_Lm5ESC_lEElllll.num_named_barrier, 0
	.set _ZN2at6native12_GLOBAL__N_136reflection_pad3d_backward_out_kernelIfEEvN5torch10headeronly6detail27GenericPackedTensorAccessorINS5_14TensorAccessorIN3c108ArrayRefIlEET_Lm4ENS4_16DefaultPtrTraitsElEENS_6detail16IndexBoundsCheckILm5ElEESB_Lm5ESC_lEENS6_INS7_ISA_KSB_Lm4ESC_lEESG_SI_Lm5ESC_lEElllll.private_seg_size, 0
	.set _ZN2at6native12_GLOBAL__N_136reflection_pad3d_backward_out_kernelIfEEvN5torch10headeronly6detail27GenericPackedTensorAccessorINS5_14TensorAccessorIN3c108ArrayRefIlEET_Lm4ENS4_16DefaultPtrTraitsElEENS_6detail16IndexBoundsCheckILm5ElEESB_Lm5ESC_lEENS6_INS7_ISA_KSB_Lm4ESC_lEESG_SI_Lm5ESC_lEElllll.uses_vcc, 1
	.set _ZN2at6native12_GLOBAL__N_136reflection_pad3d_backward_out_kernelIfEEvN5torch10headeronly6detail27GenericPackedTensorAccessorINS5_14TensorAccessorIN3c108ArrayRefIlEET_Lm4ENS4_16DefaultPtrTraitsElEENS_6detail16IndexBoundsCheckILm5ElEESB_Lm5ESC_lEENS6_INS7_ISA_KSB_Lm4ESC_lEESG_SI_Lm5ESC_lEElllll.uses_flat_scratch, 0
	.set _ZN2at6native12_GLOBAL__N_136reflection_pad3d_backward_out_kernelIfEEvN5torch10headeronly6detail27GenericPackedTensorAccessorINS5_14TensorAccessorIN3c108ArrayRefIlEET_Lm4ENS4_16DefaultPtrTraitsElEENS_6detail16IndexBoundsCheckILm5ElEESB_Lm5ESC_lEENS6_INS7_ISA_KSB_Lm4ESC_lEESG_SI_Lm5ESC_lEElllll.has_dyn_sized_stack, 0
	.set _ZN2at6native12_GLOBAL__N_136reflection_pad3d_backward_out_kernelIfEEvN5torch10headeronly6detail27GenericPackedTensorAccessorINS5_14TensorAccessorIN3c108ArrayRefIlEET_Lm4ENS4_16DefaultPtrTraitsElEENS_6detail16IndexBoundsCheckILm5ElEESB_Lm5ESC_lEENS6_INS7_ISA_KSB_Lm4ESC_lEESG_SI_Lm5ESC_lEElllll.has_recursion, 0
	.set _ZN2at6native12_GLOBAL__N_136reflection_pad3d_backward_out_kernelIfEEvN5torch10headeronly6detail27GenericPackedTensorAccessorINS5_14TensorAccessorIN3c108ArrayRefIlEET_Lm4ENS4_16DefaultPtrTraitsElEENS_6detail16IndexBoundsCheckILm5ElEESB_Lm5ESC_lEENS6_INS7_ISA_KSB_Lm4ESC_lEESG_SI_Lm5ESC_lEElllll.has_indirect_call, 0
	.section	.AMDGPU.csdata,"",@progbits
; Kernel info:
; codeLenInByte = 3648
; TotalNumSgprs: 63
; NumVgprs: 19
; NumAgprs: 0
; TotalNumVgprs: 19
; ScratchSize: 0
; MemoryBound: 0
; FloatMode: 240
; IeeeMode: 1
; LDSByteSize: 0 bytes/workgroup (compile time only)
; SGPRBlocks: 7
; VGPRBlocks: 2
; NumSGPRsForWavesPerEU: 63
; NumVGPRsForWavesPerEU: 19
; AccumOffset: 20
; Occupancy: 8
; WaveLimiterHint : 0
; COMPUTE_PGM_RSRC2:SCRATCH_EN: 0
; COMPUTE_PGM_RSRC2:USER_SGPR: 2
; COMPUTE_PGM_RSRC2:TRAP_HANDLER: 0
; COMPUTE_PGM_RSRC2:TGID_X_EN: 1
; COMPUTE_PGM_RSRC2:TGID_Y_EN: 1
; COMPUTE_PGM_RSRC2:TGID_Z_EN: 1
; COMPUTE_PGM_RSRC2:TIDIG_COMP_CNT: 0
; COMPUTE_PGM_RSRC3_GFX90A:ACCUM_OFFSET: 4
; COMPUTE_PGM_RSRC3_GFX90A:TG_SPLIT: 0
	.section	.text._ZN2at6native12_GLOBAL__N_136reflection_pad3d_backward_out_kernelIN3c107complexIdEEEEvN5torch10headeronly6detail27GenericPackedTensorAccessorINS8_14TensorAccessorINS3_8ArrayRefIlEET_Lm4ENS7_16DefaultPtrTraitsElEENS_6detail16IndexBoundsCheckILm5ElEESD_Lm5ESE_lEENS9_INSA_ISC_KSD_Lm4ESE_lEESI_SK_Lm5ESE_lEElllll,"axG",@progbits,_ZN2at6native12_GLOBAL__N_136reflection_pad3d_backward_out_kernelIN3c107complexIdEEEEvN5torch10headeronly6detail27GenericPackedTensorAccessorINS8_14TensorAccessorINS3_8ArrayRefIlEET_Lm4ENS7_16DefaultPtrTraitsElEENS_6detail16IndexBoundsCheckILm5ElEESD_Lm5ESE_lEENS9_INSA_ISC_KSD_Lm4ESE_lEESI_SK_Lm5ESE_lEElllll,comdat
	.globl	_ZN2at6native12_GLOBAL__N_136reflection_pad3d_backward_out_kernelIN3c107complexIdEEEEvN5torch10headeronly6detail27GenericPackedTensorAccessorINS8_14TensorAccessorINS3_8ArrayRefIlEET_Lm4ENS7_16DefaultPtrTraitsElEENS_6detail16IndexBoundsCheckILm5ElEESD_Lm5ESE_lEENS9_INSA_ISC_KSD_Lm4ESE_lEESI_SK_Lm5ESE_lEElllll ; -- Begin function _ZN2at6native12_GLOBAL__N_136reflection_pad3d_backward_out_kernelIN3c107complexIdEEEEvN5torch10headeronly6detail27GenericPackedTensorAccessorINS8_14TensorAccessorINS3_8ArrayRefIlEET_Lm4ENS7_16DefaultPtrTraitsElEENS_6detail16IndexBoundsCheckILm5ElEESD_Lm5ESE_lEENS9_INSA_ISC_KSD_Lm4ESE_lEESI_SK_Lm5ESE_lEElllll
	.p2align	8
	.type	_ZN2at6native12_GLOBAL__N_136reflection_pad3d_backward_out_kernelIN3c107complexIdEEEEvN5torch10headeronly6detail27GenericPackedTensorAccessorINS8_14TensorAccessorINS3_8ArrayRefIlEET_Lm4ENS7_16DefaultPtrTraitsElEENS_6detail16IndexBoundsCheckILm5ElEESD_Lm5ESE_lEENS9_INSA_ISC_KSD_Lm4ESE_lEESI_SK_Lm5ESE_lEElllll,@function
_ZN2at6native12_GLOBAL__N_136reflection_pad3d_backward_out_kernelIN3c107complexIdEEEEvN5torch10headeronly6detail27GenericPackedTensorAccessorINS8_14TensorAccessorINS3_8ArrayRefIlEET_Lm4ENS7_16DefaultPtrTraitsElEENS_6detail16IndexBoundsCheckILm5ElEESD_Lm5ESE_lEENS9_INSA_ISC_KSD_Lm4ESE_lEESI_SK_Lm5ESE_lEElllll: ; @_ZN2at6native12_GLOBAL__N_136reflection_pad3d_backward_out_kernelIN3c107complexIdEEEEvN5torch10headeronly6detail27GenericPackedTensorAccessorINS8_14TensorAccessorINS3_8ArrayRefIlEET_Lm4ENS7_16DefaultPtrTraitsElEENS_6detail16IndexBoundsCheckILm5ElEESD_Lm5ESE_lEENS9_INSA_ISC_KSD_Lm4ESE_lEESI_SK_Lm5ESE_lEElllll
; %bb.0:
	s_load_dword s5, s[0:1], 0xe4
	s_load_dwordx4 s[8:11], s[0:1], 0x70
	s_load_dwordx2 s[34:35], s[0:1], 0x80
	v_mov_b32_e32 v2, 0
	v_mov_b32_e32 v1, v2
	s_waitcnt lgkmcnt(0)
	s_and_b32 s5, s5, 0xffff
	v_mov_b32_e32 v3, s2
	v_mad_u64_u32 v[0:1], s[6:7], s5, v3, v[0:1]
	s_mul_i32 s2, s34, s11
	s_mul_hi_u32 s5, s34, s10
	s_add_i32 s5, s5, s2
	s_mul_i32 s2, s35, s10
	s_add_i32 s5, s5, s2
	s_mul_i32 s2, s34, s10
	s_mul_i32 s6, s2, s9
	s_mul_hi_u32 s7, s2, s8
	s_add_i32 s6, s7, s6
	s_mul_i32 s7, s5, s8
	s_add_i32 s7, s6, s7
	s_mul_i32 s6, s2, s8
	v_cmp_gt_i64_e32 vcc, s[6:7], v[0:1]
	s_and_saveexec_b64 s[6:7], vcc
	s_cbranch_execz .LBB70_14
; %bb.1:
	v_or_b32_e32 v3, s35, v1
	v_cmp_ne_u64_e32 vcc, 0, v[2:3]
	v_ashrrev_i32_e32 v2, 31, v1
                                        ; implicit-def: $vgpr6_vgpr7
	s_and_saveexec_b64 s[6:7], vcc
	s_xor_b64 s[8:9], exec, s[6:7]
	s_cbranch_execz .LBB70_3
; %bb.2:
	s_ashr_i32 s12, s35, 31
	s_add_u32 s6, s34, s12
	s_mov_b32 s13, s12
	s_addc_u32 s7, s35, s12
	s_xor_b64 s[14:15], s[6:7], s[12:13]
	v_cvt_f32_u32_e32 v3, s14
	v_cvt_f32_u32_e32 v4, s15
	s_sub_u32 s13, 0, s14
	s_subb_u32 s16, 0, s15
	v_mov_b32_e32 v7, 0
	v_fmamk_f32 v3, v4, 0x4f800000, v3
	v_rcp_f32_e32 v3, v3
	s_nop 0
	v_mul_f32_e32 v3, 0x5f7ffffc, v3
	v_mul_f32_e32 v4, 0x2f800000, v3
	v_trunc_f32_e32 v4, v4
	v_fmamk_f32 v3, v4, 0xcf800000, v3
	v_cvt_u32_f32_e32 v4, v4
	v_cvt_u32_f32_e32 v3, v3
	v_readfirstlane_b32 s17, v4
	v_readfirstlane_b32 s6, v3
	s_mul_i32 s7, s13, s17
	s_mul_hi_u32 s19, s13, s6
	s_mul_i32 s18, s16, s6
	s_add_i32 s7, s19, s7
	s_add_i32 s7, s7, s18
	s_mul_i32 s20, s13, s6
	s_mul_i32 s19, s6, s7
	s_mul_hi_u32 s21, s6, s20
	s_mul_hi_u32 s18, s6, s7
	s_add_u32 s19, s21, s19
	s_addc_u32 s18, 0, s18
	s_mul_hi_u32 s22, s17, s20
	s_mul_i32 s20, s17, s20
	s_add_u32 s19, s19, s20
	s_mul_hi_u32 s21, s17, s7
	s_addc_u32 s18, s18, s22
	s_addc_u32 s19, s21, 0
	s_mul_i32 s7, s17, s7
	s_add_u32 s7, s18, s7
	s_addc_u32 s18, 0, s19
	s_add_u32 s19, s6, s7
	s_cselect_b64 s[6:7], -1, 0
	s_cmp_lg_u64 s[6:7], 0
	s_addc_u32 s17, s17, s18
	s_mul_i32 s6, s13, s17
	s_mul_hi_u32 s7, s13, s19
	s_add_i32 s6, s7, s6
	s_mul_i32 s16, s16, s19
	s_add_i32 s6, s6, s16
	s_mul_i32 s13, s13, s19
	s_mul_hi_u32 s16, s17, s13
	s_mul_i32 s18, s17, s13
	s_mul_i32 s21, s19, s6
	s_mul_hi_u32 s13, s19, s13
	s_mul_hi_u32 s20, s19, s6
	s_add_u32 s13, s13, s21
	s_addc_u32 s20, 0, s20
	s_add_u32 s13, s13, s18
	s_mul_hi_u32 s7, s17, s6
	s_addc_u32 s13, s20, s16
	s_addc_u32 s7, s7, 0
	s_mul_i32 s6, s17, s6
	s_add_u32 s6, s13, s6
	s_addc_u32 s13, 0, s7
	s_add_u32 s16, s19, s6
	s_cselect_b64 s[6:7], -1, 0
	v_mov_b32_e32 v3, v2
	s_cmp_lg_u64 s[6:7], 0
	v_lshl_add_u64 v[4:5], v[0:1], 0, v[2:3]
	s_addc_u32 s13, s17, s13
	v_xor_b32_e32 v12, v4, v2
	v_xor_b32_e32 v3, v5, v2
	v_mad_u64_u32 v[4:5], s[6:7], v12, s13, 0
	v_mul_hi_u32 v6, v12, s16
	v_lshl_add_u64 v[4:5], v[6:7], 0, v[4:5]
	v_mad_u64_u32 v[10:11], s[6:7], v3, s16, 0
	v_add_co_u32_e32 v4, vcc, v4, v10
	v_mad_u64_u32 v[8:9], s[6:7], v3, s13, 0
	s_nop 0
	v_addc_co_u32_e32 v6, vcc, v5, v11, vcc
	s_nop 1
	v_addc_co_u32_e32 v9, vcc, 0, v9, vcc
	v_lshl_add_u64 v[4:5], v[6:7], 0, v[8:9]
	v_mul_lo_u32 v8, s15, v4
	v_mul_lo_u32 v9, s14, v5
	v_mad_u64_u32 v[6:7], s[6:7], s14, v4, 0
	v_add3_u32 v10, v7, v9, v8
	v_sub_u32_e32 v7, v3, v10
	v_mov_b32_e32 v8, s15
	v_sub_co_u32_e32 v11, vcc, v12, v6
	s_nop 1
	v_subb_co_u32_e64 v6, s[6:7], v7, v8, vcc
	v_subrev_co_u32_e64 v7, s[6:7], s14, v11
	v_subb_co_u32_e32 v3, vcc, v3, v10, vcc
	s_nop 0
	v_subbrev_co_u32_e64 v6, s[6:7], 0, v6, s[6:7]
	v_cmp_le_u32_e64 s[6:7], s15, v6
	v_cmp_le_u32_e32 vcc, s15, v3
	s_nop 0
	v_cndmask_b32_e64 v8, 0, -1, s[6:7]
	v_cmp_le_u32_e64 s[6:7], s14, v7
	s_nop 1
	v_cndmask_b32_e64 v7, 0, -1, s[6:7]
	v_cmp_eq_u32_e64 s[6:7], s15, v6
	s_nop 1
	v_cndmask_b32_e64 v12, v8, v7, s[6:7]
	v_lshl_add_u64 v[6:7], v[4:5], 0, 2
	v_lshl_add_u64 v[8:9], v[4:5], 0, 1
	v_cmp_ne_u32_e64 s[6:7], 0, v12
	s_nop 1
	v_cndmask_b32_e64 v7, v9, v7, s[6:7]
	v_cndmask_b32_e64 v9, 0, -1, vcc
	v_cmp_le_u32_e32 vcc, s14, v11
	s_nop 1
	v_cndmask_b32_e64 v10, 0, -1, vcc
	v_cmp_eq_u32_e32 vcc, s15, v3
	s_nop 1
	v_cndmask_b32_e32 v3, v9, v10, vcc
	v_cmp_ne_u32_e32 vcc, 0, v3
	s_nop 1
	v_cndmask_b32_e32 v3, v5, v7, vcc
	v_cndmask_b32_e64 v5, v8, v6, s[6:7]
	v_cndmask_b32_e32 v4, v4, v5, vcc
	v_xor_b32_e32 v5, s12, v2
	v_xor_b32_e32 v4, v4, v5
	;; [unrolled: 1-line block ×3, first 2 shown]
	v_sub_co_u32_e32 v6, vcc, v4, v5
	s_nop 1
	v_subb_co_u32_e32 v7, vcc, v3, v5, vcc
.LBB70_3:
	s_andn2_saveexec_b64 s[6:7], s[8:9]
	s_cbranch_execz .LBB70_5
; %bb.4:
	v_cvt_f32_u32_e32 v3, s34
	s_sub_i32 s8, 0, s34
	v_mov_b32_e32 v7, 0
	v_rcp_iflag_f32_e32 v3, v3
	s_nop 0
	v_mul_f32_e32 v3, 0x4f7ffffe, v3
	v_cvt_u32_f32_e32 v3, v3
	v_mul_lo_u32 v4, s8, v3
	v_mul_hi_u32 v4, v3, v4
	v_add_u32_e32 v3, v3, v4
	v_mul_hi_u32 v3, v0, v3
	v_mul_lo_u32 v4, v3, s34
	v_sub_u32_e32 v4, v0, v4
	v_add_u32_e32 v5, 1, v3
	v_subrev_u32_e32 v6, s34, v4
	v_cmp_le_u32_e32 vcc, s34, v4
	s_nop 1
	v_cndmask_b32_e32 v4, v4, v6, vcc
	v_cndmask_b32_e32 v3, v3, v5, vcc
	v_add_u32_e32 v5, 1, v3
	v_cmp_le_u32_e32 vcc, s34, v4
	s_nop 1
	v_cndmask_b32_e32 v6, v3, v5, vcc
.LBB70_5:
	s_or_b64 exec, exec, s[6:7]
	v_or_b32_e32 v9, s11, v7
	v_mov_b32_e32 v8, 0
	v_cmp_ne_u64_e32 vcc, 0, v[8:9]
                                        ; implicit-def: $vgpr4_vgpr5
	s_and_saveexec_b64 s[6:7], vcc
	s_xor_b64 s[12:13], exec, s[6:7]
	s_cbranch_execz .LBB70_7
; %bb.6:
	s_ashr_i32 s6, s11, 31
	s_add_u32 s8, s10, s6
	s_mov_b32 s7, s6
	s_addc_u32 s9, s11, s6
	s_xor_b64 s[14:15], s[8:9], s[6:7]
	v_cvt_f32_u32_e32 v3, s14
	v_cvt_f32_u32_e32 v4, s15
	s_sub_u32 s8, 0, s14
	s_subb_u32 s9, 0, s15
	v_ashrrev_i32_e32 v10, 31, v7
	v_fmamk_f32 v3, v4, 0x4f800000, v3
	v_rcp_f32_e32 v3, v3
	v_mov_b32_e32 v11, v10
	v_mov_b32_e32 v13, v8
	v_mul_f32_e32 v3, 0x5f7ffffc, v3
	v_mul_f32_e32 v4, 0x2f800000, v3
	v_trunc_f32_e32 v4, v4
	v_fmamk_f32 v3, v4, 0xcf800000, v3
	v_cvt_u32_f32_e32 v4, v4
	v_cvt_u32_f32_e32 v3, v3
	v_readfirstlane_b32 s11, v4
	v_readfirstlane_b32 s6, v3
	s_mul_i32 s7, s8, s11
	s_mul_hi_u32 s17, s8, s6
	s_mul_i32 s16, s9, s6
	s_add_i32 s7, s17, s7
	s_add_i32 s7, s7, s16
	s_mul_i32 s18, s8, s6
	s_mul_i32 s17, s6, s7
	s_mul_hi_u32 s19, s6, s18
	s_mul_hi_u32 s16, s6, s7
	s_add_u32 s17, s19, s17
	s_addc_u32 s16, 0, s16
	s_mul_hi_u32 s20, s11, s18
	s_mul_i32 s18, s11, s18
	s_add_u32 s17, s17, s18
	s_mul_hi_u32 s19, s11, s7
	s_addc_u32 s16, s16, s20
	s_addc_u32 s17, s19, 0
	s_mul_i32 s7, s11, s7
	s_add_u32 s7, s16, s7
	s_addc_u32 s16, 0, s17
	s_add_u32 s17, s6, s7
	s_cselect_b64 s[6:7], -1, 0
	s_cmp_lg_u64 s[6:7], 0
	s_addc_u32 s11, s11, s16
	s_mul_i32 s6, s8, s11
	s_mul_hi_u32 s7, s8, s17
	s_add_i32 s6, s7, s6
	s_mul_i32 s9, s9, s17
	s_add_i32 s6, s6, s9
	s_mul_i32 s8, s8, s17
	s_mul_hi_u32 s9, s11, s8
	s_mul_i32 s16, s11, s8
	s_mul_i32 s19, s17, s6
	s_mul_hi_u32 s8, s17, s8
	s_mul_hi_u32 s18, s17, s6
	s_add_u32 s8, s8, s19
	s_addc_u32 s18, 0, s18
	s_add_u32 s8, s8, s16
	s_mul_hi_u32 s7, s11, s6
	s_addc_u32 s8, s18, s9
	s_addc_u32 s7, s7, 0
	s_mul_i32 s6, s11, s6
	s_add_u32 s6, s8, s6
	s_addc_u32 s8, 0, s7
	s_add_u32 s9, s17, s6
	s_cselect_b64 s[6:7], -1, 0
	s_cmp_lg_u64 s[6:7], 0
	v_lshl_add_u64 v[4:5], v[6:7], 0, v[10:11]
	s_addc_u32 s8, s11, s8
	v_xor_b32_e32 v9, v4, v10
	v_xor_b32_e32 v3, v5, v10
	v_mad_u64_u32 v[4:5], s[6:7], v9, s8, 0
	v_mul_hi_u32 v12, v9, s9
	v_lshl_add_u64 v[4:5], v[12:13], 0, v[4:5]
	v_mad_u64_u32 v[14:15], s[6:7], v3, s9, 0
	v_add_co_u32_e32 v4, vcc, v4, v14
	v_mad_u64_u32 v[12:13], s[6:7], v3, s8, 0
	s_nop 0
	v_addc_co_u32_e32 v4, vcc, v5, v15, vcc
	v_mov_b32_e32 v5, v8
	s_nop 0
	v_addc_co_u32_e32 v13, vcc, 0, v13, vcc
	v_lshl_add_u64 v[4:5], v[4:5], 0, v[12:13]
	v_mul_lo_u32 v8, s15, v4
	v_mul_lo_u32 v11, s14, v5
	v_mad_u64_u32 v[4:5], s[6:7], s14, v4, 0
	v_add3_u32 v5, v5, v11, v8
	v_sub_u32_e32 v8, v3, v5
	v_mov_b32_e32 v11, s15
	v_sub_co_u32_e32 v4, vcc, v9, v4
	s_nop 1
	v_subb_co_u32_e64 v8, s[6:7], v8, v11, vcc
	v_subrev_co_u32_e64 v9, s[6:7], s14, v4
	v_subb_co_u32_e32 v3, vcc, v3, v5, vcc
	s_nop 0
	v_subbrev_co_u32_e64 v12, s[8:9], 0, v8, s[6:7]
	v_cmp_le_u32_e64 s[8:9], s15, v12
	v_subb_co_u32_e64 v8, s[6:7], v8, v11, s[6:7]
	s_nop 0
	v_cndmask_b32_e64 v13, 0, -1, s[8:9]
	v_cmp_le_u32_e64 s[8:9], s14, v9
	v_subrev_co_u32_e64 v11, s[6:7], s14, v9
	s_nop 0
	v_cndmask_b32_e64 v14, 0, -1, s[8:9]
	v_cmp_eq_u32_e64 s[8:9], s15, v12
	v_subbrev_co_u32_e64 v8, s[6:7], 0, v8, s[6:7]
	s_nop 0
	v_cndmask_b32_e64 v13, v13, v14, s[8:9]
	v_cmp_le_u32_e32 vcc, s15, v3
	v_cmp_ne_u32_e64 s[6:7], 0, v13
	s_nop 0
	v_cndmask_b32_e64 v5, 0, -1, vcc
	v_cmp_le_u32_e32 vcc, s14, v4
	v_cndmask_b32_e64 v8, v12, v8, s[6:7]
	s_nop 0
	v_cndmask_b32_e64 v12, 0, -1, vcc
	v_cmp_eq_u32_e32 vcc, s15, v3
	s_nop 1
	v_cndmask_b32_e32 v5, v5, v12, vcc
	v_cmp_ne_u32_e32 vcc, 0, v5
	v_cndmask_b32_e64 v5, v9, v11, s[6:7]
	s_nop 0
	v_cndmask_b32_e32 v4, v4, v5, vcc
	v_cndmask_b32_e32 v3, v3, v8, vcc
	v_xor_b32_e32 v4, v4, v10
	v_xor_b32_e32 v3, v3, v10
	v_sub_co_u32_e32 v4, vcc, v4, v10
	s_nop 1
	v_subb_co_u32_e32 v5, vcc, v3, v10, vcc
.LBB70_7:
	s_or_saveexec_b64 s[6:7], s[12:13]
	s_load_dwordx2 s[46:47], s[0:1], 0xa8
	s_load_dwordx8 s[24:31], s[0:1], 0x88
	s_xor_b64 exec, exec, s[6:7]
	s_cbranch_execz .LBB70_9
; %bb.8:
	v_cvt_f32_u32_e32 v3, s10
	s_sub_i32 s8, 0, s10
	v_mov_b32_e32 v5, 0
	v_rcp_iflag_f32_e32 v3, v3
	s_nop 0
	v_mul_f32_e32 v3, 0x4f7ffffe, v3
	v_cvt_u32_f32_e32 v3, v3
	v_mul_lo_u32 v4, s8, v3
	v_mul_hi_u32 v4, v3, v4
	v_add_u32_e32 v3, v3, v4
	v_mul_hi_u32 v3, v6, v3
	v_mul_lo_u32 v3, v3, s10
	v_sub_u32_e32 v3, v6, v3
	v_subrev_u32_e32 v4, s10, v3
	v_cmp_le_u32_e32 vcc, s10, v3
	s_nop 1
	v_cndmask_b32_e32 v3, v3, v4, vcc
	v_subrev_u32_e32 v4, s10, v3
	v_cmp_le_u32_e32 vcc, s10, v3
	s_nop 1
	v_cndmask_b32_e32 v4, v3, v4, vcc
.LBB70_9:
	s_or_b64 exec, exec, s[6:7]
	s_load_dwordx2 s[48:49], s[0:1], 0x58
	s_load_dwordx2 s[44:45], s[0:1], 0x0
	v_or_b32_e32 v11, s5, v1
	v_mov_b32_e32 v10, 0
	v_cmp_ne_u64_e32 vcc, 0, v[10:11]
                                        ; implicit-def: $vgpr8_vgpr9
	s_and_saveexec_b64 s[6:7], vcc
	s_xor_b64 s[8:9], exec, s[6:7]
	s_cbranch_execz .LBB70_11
; %bb.10:
	s_ashr_i32 s10, s5, 31
	s_add_u32 s6, s2, s10
	s_mov_b32 s11, s10
	s_addc_u32 s7, s5, s10
	s_xor_b64 s[12:13], s[6:7], s[10:11]
	v_cvt_f32_u32_e32 v3, s12
	v_cvt_f32_u32_e32 v8, s13
	s_sub_u32 s5, 0, s12
	s_subb_u32 s11, 0, s13
	v_mov_b32_e32 v13, v10
	v_fmamk_f32 v3, v8, 0x4f800000, v3
	v_rcp_f32_e32 v3, v3
	s_nop 0
	v_mul_f32_e32 v3, 0x5f7ffffc, v3
	v_mul_f32_e32 v8, 0x2f800000, v3
	v_trunc_f32_e32 v8, v8
	v_fmamk_f32 v3, v8, 0xcf800000, v3
	v_cvt_u32_f32_e32 v8, v8
	v_cvt_u32_f32_e32 v3, v3
	v_readfirstlane_b32 s14, v8
	v_readfirstlane_b32 s6, v3
	s_mul_i32 s7, s5, s14
	s_mul_hi_u32 s16, s5, s6
	s_mul_i32 s15, s11, s6
	s_add_i32 s7, s16, s7
	s_add_i32 s7, s7, s15
	s_mul_i32 s17, s5, s6
	s_mul_i32 s16, s6, s7
	s_mul_hi_u32 s18, s6, s17
	s_mul_hi_u32 s15, s6, s7
	s_add_u32 s16, s18, s16
	s_addc_u32 s15, 0, s15
	s_mul_hi_u32 s19, s14, s17
	s_mul_i32 s17, s14, s17
	s_add_u32 s16, s16, s17
	s_mul_hi_u32 s18, s14, s7
	s_addc_u32 s15, s15, s19
	s_addc_u32 s16, s18, 0
	s_mul_i32 s7, s14, s7
	s_add_u32 s7, s15, s7
	s_addc_u32 s15, 0, s16
	s_add_u32 s16, s6, s7
	s_cselect_b64 s[6:7], -1, 0
	s_cmp_lg_u64 s[6:7], 0
	s_addc_u32 s14, s14, s15
	s_mul_i32 s6, s5, s14
	s_mul_hi_u32 s7, s5, s16
	s_add_i32 s6, s7, s6
	s_mul_i32 s11, s11, s16
	s_add_i32 s6, s6, s11
	s_mul_i32 s5, s5, s16
	s_mul_hi_u32 s11, s14, s5
	s_mul_i32 s15, s14, s5
	s_mul_i32 s18, s16, s6
	s_mul_hi_u32 s5, s16, s5
	s_mul_hi_u32 s17, s16, s6
	s_add_u32 s5, s5, s18
	s_addc_u32 s17, 0, s17
	s_add_u32 s5, s5, s15
	s_mul_hi_u32 s7, s14, s6
	s_addc_u32 s5, s17, s11
	s_addc_u32 s7, s7, 0
	s_mul_i32 s6, s14, s6
	s_add_u32 s5, s5, s6
	s_addc_u32 s11, 0, s7
	s_add_u32 s5, s16, s5
	s_cselect_b64 s[6:7], -1, 0
	v_mov_b32_e32 v3, v2
	s_cmp_lg_u64 s[6:7], 0
	v_lshl_add_u64 v[8:9], v[0:1], 0, v[2:3]
	s_addc_u32 s11, s14, s11
	v_xor_b32_e32 v16, v8, v2
	v_xor_b32_e32 v3, v9, v2
	v_mad_u64_u32 v[8:9], s[6:7], v16, s11, 0
	v_mul_hi_u32 v12, v16, s5
	v_lshl_add_u64 v[8:9], v[12:13], 0, v[8:9]
	v_mad_u64_u32 v[14:15], s[6:7], v3, s5, 0
	v_add_co_u32_e32 v8, vcc, v8, v14
	v_mad_u64_u32 v[12:13], s[6:7], v3, s11, 0
	s_nop 0
	v_addc_co_u32_e32 v8, vcc, v9, v15, vcc
	v_mov_b32_e32 v9, v10
	s_nop 0
	v_addc_co_u32_e32 v13, vcc, 0, v13, vcc
	v_lshl_add_u64 v[8:9], v[8:9], 0, v[12:13]
	v_mul_lo_u32 v12, s13, v8
	v_mul_lo_u32 v13, s12, v9
	v_mad_u64_u32 v[10:11], s[6:7], s12, v8, 0
	v_add3_u32 v14, v11, v13, v12
	v_sub_u32_e32 v11, v3, v14
	v_mov_b32_e32 v12, s13
	v_sub_co_u32_e32 v15, vcc, v16, v10
	v_xor_b32_e32 v2, s10, v2
	s_nop 0
	v_subb_co_u32_e64 v10, s[6:7], v11, v12, vcc
	v_subrev_co_u32_e64 v11, s[6:7], s12, v15
	v_subb_co_u32_e32 v3, vcc, v3, v14, vcc
	s_nop 0
	v_subbrev_co_u32_e64 v10, s[6:7], 0, v10, s[6:7]
	v_cmp_le_u32_e64 s[6:7], s13, v10
	v_cmp_le_u32_e32 vcc, s13, v3
	s_nop 0
	v_cndmask_b32_e64 v12, 0, -1, s[6:7]
	v_cmp_le_u32_e64 s[6:7], s12, v11
	s_nop 1
	v_cndmask_b32_e64 v11, 0, -1, s[6:7]
	v_cmp_eq_u32_e64 s[6:7], s13, v10
	s_nop 1
	v_cndmask_b32_e64 v16, v12, v11, s[6:7]
	v_lshl_add_u64 v[10:11], v[8:9], 0, 2
	v_lshl_add_u64 v[12:13], v[8:9], 0, 1
	v_cmp_ne_u32_e64 s[6:7], 0, v16
	s_nop 1
	v_cndmask_b32_e64 v11, v13, v11, s[6:7]
	v_cndmask_b32_e64 v13, 0, -1, vcc
	v_cmp_le_u32_e32 vcc, s12, v15
	s_nop 1
	v_cndmask_b32_e64 v14, 0, -1, vcc
	v_cmp_eq_u32_e32 vcc, s13, v3
	s_nop 1
	v_cndmask_b32_e32 v3, v13, v14, vcc
	v_cmp_ne_u32_e32 vcc, 0, v3
	s_nop 1
	v_cndmask_b32_e32 v3, v9, v11, vcc
	v_cndmask_b32_e64 v9, v12, v10, s[6:7]
	v_cndmask_b32_e32 v8, v8, v9, vcc
	v_xor_b32_e32 v8, v8, v2
	v_xor_b32_e32 v3, v3, v2
	v_sub_co_u32_e32 v8, vcc, v8, v2
	s_nop 1
	v_subb_co_u32_e32 v9, vcc, v3, v2, vcc
.LBB70_11:
	s_or_saveexec_b64 s[6:7], s[8:9]
	s_load_dwordx16 s[8:23], s[0:1], 0x18
	s_xor_b64 exec, exec, s[6:7]
	s_cbranch_execz .LBB70_13
; %bb.12:
	v_cvt_f32_u32_e32 v2, s2
	s_sub_i32 s5, 0, s2
	v_rcp_iflag_f32_e32 v2, v2
	s_nop 0
	v_mul_f32_e32 v2, 0x4f7ffffe, v2
	v_cvt_u32_f32_e32 v2, v2
	v_mul_lo_u32 v3, s5, v2
	v_mul_hi_u32 v3, v2, v3
	v_add_u32_e32 v2, v2, v3
	v_mul_hi_u32 v2, v0, v2
	v_mul_lo_u32 v3, v2, s2
	v_sub_u32_e32 v3, v0, v3
	v_add_u32_e32 v8, 1, v2
	v_subrev_u32_e32 v9, s2, v3
	v_cmp_le_u32_e32 vcc, s2, v3
	s_nop 1
	v_cndmask_b32_e32 v3, v3, v9, vcc
	v_cndmask_b32_e32 v2, v2, v8, vcc
	v_add_u32_e32 v8, 1, v2
	v_cmp_le_u32_e32 vcc, s2, v3
	v_mov_b32_e32 v9, 0
	s_nop 0
	v_cndmask_b32_e32 v8, v2, v8, vcc
.LBB70_13:
	s_or_b64 exec, exec, s[6:7]
	s_load_dwordx8 s[36:43], s[0:1], 0xb0
	v_mad_u64_u32 v[2:3], s[6:7], v6, s34, 0
	v_mul_lo_u32 v7, v7, s34
	v_mul_lo_u32 v10, v6, s35
	s_waitcnt lgkmcnt(0)
	s_sub_u32 s6, 0, s36
	s_subb_u32 s7, 0, s37
	s_sub_u32 s34, 0, s38
	s_subb_u32 s35, 0, s39
	;; [unrolled: 2-line block ×3, first 2 shown]
	v_cmp_gt_i64_e64 s[52:53], s[6:7], 0
	s_and_b64 s[52:53], s[52:53], exec
	s_cselect_b32 s2, s7, 0
	s_cselect_b32 s5, s6, 0
	v_cmp_gt_i64_e64 s[6:7], s[36:37], 0
	s_and_b64 s[6:7], s[6:7], exec
	v_cmp_gt_i64_e64 s[6:7], s[34:35], 0
	s_cselect_b32 s53, s37, 0
	s_cselect_b32 s52, s36, 0
	s_and_b64 s[6:7], s[6:7], exec
	v_add3_u32 v3, v3, v10, v7
	v_sub_co_u32_e32 v0, vcc, v0, v2
	v_cmp_gt_i64_e64 s[6:7], s[38:39], 0
	s_nop 0
	v_subb_co_u32_e32 v1, vcc, v1, v3, vcc
	s_cselect_b32 s33, s35, 0
	s_cselect_b32 s54, s34, 0
	s_and_b64 s[6:7], s[6:7], exec
	v_cmp_gt_i64_e64 s[6:7], s[50:51], 0
	v_mov_b32_e32 v2, s37
	v_subrev_co_u32_e32 v3, vcc, s36, v0
	s_cselect_b32 s35, s39, 0
	s_cselect_b32 s34, s38, 0
	s_and_b64 s[6:7], s[6:7], exec
	v_subb_co_u32_e32 v2, vcc, v1, v2, vcc
	v_cmp_gt_i64_e64 s[6:7], s[40:41], 0
	v_ashrrev_i32_e32 v6, 31, v2
	s_cselect_b32 s55, s51, 0
	s_cselect_b32 s56, s50, 0
	s_and_b64 s[6:7], s[6:7], exec
	v_xor_b32_e32 v7, v2, v6
	v_xor_b32_e32 v2, v3, v6
	s_cselect_b32 s7, s41, 0
	s_cselect_b32 s6, s40, 0
	v_sub_co_u32_e32 v2, vcc, v2, v6
	s_add_u32 s50, s36, s12
	s_nop 0
	v_subb_co_u32_e32 v3, vcc, v7, v6, vcc
	s_addc_u32 s51, s37, s13
	v_mov_b32_e32 v7, s51
	v_subrev_co_u32_e32 v6, vcc, s50, v0
	s_lshl_b64 s[36:37], s[36:37], 1
	s_nop 0
	v_subb_co_u32_e32 v7, vcc, v1, v7, vcc
	s_not_b64 s[50:51], s[52:53]
	v_lshl_add_u64 v[6:7], v[6:7], 0, 1
	s_add_u32 s36, s36, s50
	v_ashrrev_i32_e32 v10, 31, v7
	s_addc_u32 s37, s37, s51
	v_xor_b32_e32 v6, v6, v10
	s_add_u32 s5, s36, s5
	v_xor_b32_e32 v7, v7, v10
	v_sub_co_u32_e32 v6, vcc, v6, v10
	s_addc_u32 s2, s37, s2
	s_nop 0
	v_subb_co_u32_e32 v7, vcc, v7, v10, vcc
	s_add_u32 s5, s5, s12
	s_addc_u32 s2, s2, s13
	v_lshl_add_u64 v[6:7], v[0:1], 0, v[6:7]
	v_mov_b32_e32 v10, s2
	v_sub_co_u32_e32 v6, vcc, s5, v6
	s_add_u32 s2, s38, s10
	s_nop 0
	v_subb_co_u32_e32 v7, vcc, v10, v7, vcc
	v_lshl_add_u64 v[2:3], v[6:7], 0, v[2:3]
	v_mov_b32_e32 v6, s39
	v_subrev_co_u32_e32 v7, vcc, s38, v4
	s_addc_u32 s5, s39, s11
	s_nop 0
	v_subb_co_u32_e32 v6, vcc, v5, v6, vcc
	v_ashrrev_i32_e32 v10, 31, v6
	v_xor_b32_e32 v11, v6, v10
	v_xor_b32_e32 v6, v7, v10
	v_sub_co_u32_e32 v6, vcc, v6, v10
	s_lshl_b64 s[12:13], s[38:39], 1
	s_nop 0
	v_subb_co_u32_e32 v7, vcc, v11, v10, vcc
	s_not_b64 s[34:35], s[34:35]
	v_subrev_co_u32_e32 v10, vcc, s2, v4
	s_add_u32 s2, s12, s34
	v_mov_b32_e32 v11, s5
	s_addc_u32 s5, s13, s35
	s_add_u32 s2, s2, s54
	s_addc_u32 s5, s5, s33
	s_add_u32 s12, s2, s10
	;; [unrolled: 2-line block ×3, first 2 shown]
	s_addc_u32 s33, s41, s9
	s_lshl_b64 s[10:11], s[40:41], 1
	s_not_b64 s[6:7], s[6:7]
	s_add_u32 s2, s10, s6
	s_addc_u32 s6, s11, s7
	s_add_u32 s2, s2, s56
	s_load_dwordx2 s[0:1], s[0:1], 0xd0
	s_addc_u32 s6, s6, s55
	s_add_u32 s7, s2, s8
	s_addc_u32 s6, s6, s9
	s_add_u32 s8, s42, s3
	s_addc_u32 s9, s43, 0
	s_waitcnt lgkmcnt(0)
	s_add_u32 s4, s0, s4
	s_addc_u32 s10, s1, 0
	s_mul_i32 s0, s24, s10
	s_mul_hi_u32 s1, s24, s4
	s_add_i32 s0, s1, s0
	s_mul_i32 s1, s25, s4
	s_add_i32 s1, s0, s1
	s_mul_i32 s0, s24, s4
	s_lshl_b64 s[0:1], s[0:1], 4
	s_add_u32 s2, s48, s0
	s_addc_u32 s3, s49, s1
	s_mul_i32 s0, s26, s9
	s_mul_hi_u32 s1, s26, s8
	s_add_i32 s0, s1, s0
	s_mul_i32 s1, s27, s8
	v_subb_co_u32_e32 v11, vcc, v5, v11, vcc
	s_add_i32 s1, s0, s1
	s_mul_i32 s0, s26, s8
	v_lshl_add_u64 v[10:11], v[10:11], 0, 1
	s_lshl_b64 s[0:1], s[0:1], 4
	v_ashrrev_i32_e32 v14, 31, v11
	s_add_u32 s0, s2, s0
	v_xor_b32_e32 v15, v11, v14
	v_xor_b32_e32 v16, v10, v14
	s_addc_u32 s1, s3, s1
	v_mul_lo_u32 v12, v9, s28
	v_mul_lo_u32 v13, v8, s29
	v_mad_u64_u32 v[10:11], s[2:3], v8, s28, 0
	v_add3_u32 v11, v11, v13, v12
	v_lshl_add_u64 v[10:11], v[10:11], 4, s[0:1]
	v_mul_lo_u32 v17, v5, s30
	v_mul_lo_u32 v18, v4, s31
	v_mad_u64_u32 v[12:13], s[0:1], v4, s30, 0
	v_add3_u32 v13, v13, v18, v17
	v_lshl_add_u64 v[10:11], v[12:13], 4, v[10:11]
	;; [unrolled: 5-line block ×3, first 2 shown]
	global_load_dwordx4 v[10:13], v[0:1], off
	v_sub_co_u32_e32 v0, vcc, v16, v14
	s_mul_i32 s0, s14, s10
	s_nop 0
	v_subb_co_u32_e32 v1, vcc, v15, v14, vcc
	v_lshl_add_u64 v[0:1], v[4:5], 0, v[0:1]
	v_mov_b32_e32 v4, s5
	v_sub_co_u32_e32 v0, vcc, s12, v0
	s_mul_hi_u32 s1, s14, s4
	s_nop 0
	v_subb_co_u32_e32 v1, vcc, v4, v1, vcc
	v_mov_b32_e32 v4, s41
	v_subrev_co_u32_e32 v5, vcc, s40, v8
	v_lshl_add_u64 v[0:1], v[0:1], 0, v[6:7]
	s_nop 0
	v_subb_co_u32_e32 v4, vcc, v9, v4, vcc
	v_ashrrev_i32_e32 v6, 31, v4
	v_xor_b32_e32 v7, v4, v6
	v_xor_b32_e32 v4, v5, v6
	v_sub_co_u32_e32 v4, vcc, v4, v6
	s_add_i32 s0, s1, s0
	s_nop 0
	v_subb_co_u32_e32 v5, vcc, v7, v6, vcc
	v_mov_b32_e32 v7, s33
	v_subrev_co_u32_e32 v6, vcc, s13, v8
	s_mul_i32 s1, s15, s4
	s_nop 0
	v_subb_co_u32_e32 v7, vcc, v9, v7, vcc
	v_lshl_add_u64 v[6:7], v[6:7], 0, 1
	v_ashrrev_i32_e32 v14, 31, v7
	s_add_i32 s1, s0, s1
	s_mul_i32 s0, s14, s4
	v_xor_b32_e32 v6, v6, v14
	s_lshl_b64 s[0:1], s[0:1], 4
	v_xor_b32_e32 v7, v7, v14
	v_sub_co_u32_e32 v6, vcc, v6, v14
	s_add_u32 s2, s44, s0
	s_nop 0
	v_subb_co_u32_e32 v7, vcc, v7, v14, vcc
	s_addc_u32 s3, s45, s1
	s_mul_i32 s0, s16, s9
	s_mul_hi_u32 s1, s16, s8
	v_lshl_add_u64 v[6:7], v[8:9], 0, v[6:7]
	s_add_i32 s0, s1, s0
	s_mul_i32 s1, s17, s8
	v_mov_b32_e32 v8, s6
	v_sub_co_u32_e32 v6, vcc, s7, v6
	s_add_i32 s1, s0, s1
	s_mul_i32 s0, s16, s8
	v_subb_co_u32_e32 v7, vcc, v8, v7, vcc
	s_lshl_b64 s[0:1], s[0:1], 4
	v_lshl_add_u64 v[4:5], v[6:7], 0, v[4:5]
	s_add_u32 s0, s2, s0
	s_addc_u32 s1, s3, s1
	v_mul_lo_u32 v6, v5, s18
	v_mul_lo_u32 v7, v4, s19
	v_mad_u64_u32 v[4:5], s[2:3], v4, s18, 0
	v_add3_u32 v5, v5, v7, v6
	v_lshl_add_u64 v[4:5], v[4:5], 4, s[0:1]
	v_mul_lo_u32 v6, v1, s20
	v_mul_lo_u32 v7, v0, s21
	v_mad_u64_u32 v[0:1], s[0:1], v0, s20, 0
	v_add3_u32 v1, v1, v7, v6
	v_lshl_add_u64 v[0:1], v[0:1], 4, v[4:5]
	;; [unrolled: 5-line block ×3, first 2 shown]
	s_waitcnt vmcnt(0)
	global_atomic_add_f64 v[0:1], v[10:11], off
	global_atomic_add_f64 v[0:1], v[12:13], off offset:8
.LBB70_14:
	s_endpgm
	.section	.rodata,"a",@progbits
	.p2align	6, 0x0
	.amdhsa_kernel _ZN2at6native12_GLOBAL__N_136reflection_pad3d_backward_out_kernelIN3c107complexIdEEEEvN5torch10headeronly6detail27GenericPackedTensorAccessorINS8_14TensorAccessorINS3_8ArrayRefIlEET_Lm4ENS7_16DefaultPtrTraitsElEENS_6detail16IndexBoundsCheckILm5ElEESD_Lm5ESE_lEENS9_INSA_ISC_KSD_Lm4ESE_lEESI_SK_Lm5ESE_lEElllll
		.amdhsa_group_segment_fixed_size 0
		.amdhsa_private_segment_fixed_size 0
		.amdhsa_kernarg_size 472
		.amdhsa_user_sgpr_count 2
		.amdhsa_user_sgpr_dispatch_ptr 0
		.amdhsa_user_sgpr_queue_ptr 0
		.amdhsa_user_sgpr_kernarg_segment_ptr 1
		.amdhsa_user_sgpr_dispatch_id 0
		.amdhsa_user_sgpr_kernarg_preload_length 0
		.amdhsa_user_sgpr_kernarg_preload_offset 0
		.amdhsa_user_sgpr_private_segment_size 0
		.amdhsa_uses_dynamic_stack 0
		.amdhsa_enable_private_segment 0
		.amdhsa_system_sgpr_workgroup_id_x 1
		.amdhsa_system_sgpr_workgroup_id_y 1
		.amdhsa_system_sgpr_workgroup_id_z 1
		.amdhsa_system_sgpr_workgroup_info 0
		.amdhsa_system_vgpr_workitem_id 0
		.amdhsa_next_free_vgpr 19
		.amdhsa_next_free_sgpr 57
		.amdhsa_accum_offset 20
		.amdhsa_reserve_vcc 1
		.amdhsa_float_round_mode_32 0
		.amdhsa_float_round_mode_16_64 0
		.amdhsa_float_denorm_mode_32 3
		.amdhsa_float_denorm_mode_16_64 3
		.amdhsa_dx10_clamp 1
		.amdhsa_ieee_mode 1
		.amdhsa_fp16_overflow 0
		.amdhsa_tg_split 0
		.amdhsa_exception_fp_ieee_invalid_op 0
		.amdhsa_exception_fp_denorm_src 0
		.amdhsa_exception_fp_ieee_div_zero 0
		.amdhsa_exception_fp_ieee_overflow 0
		.amdhsa_exception_fp_ieee_underflow 0
		.amdhsa_exception_fp_ieee_inexact 0
		.amdhsa_exception_int_div_zero 0
	.end_amdhsa_kernel
	.section	.text._ZN2at6native12_GLOBAL__N_136reflection_pad3d_backward_out_kernelIN3c107complexIdEEEEvN5torch10headeronly6detail27GenericPackedTensorAccessorINS8_14TensorAccessorINS3_8ArrayRefIlEET_Lm4ENS7_16DefaultPtrTraitsElEENS_6detail16IndexBoundsCheckILm5ElEESD_Lm5ESE_lEENS9_INSA_ISC_KSD_Lm4ESE_lEESI_SK_Lm5ESE_lEElllll,"axG",@progbits,_ZN2at6native12_GLOBAL__N_136reflection_pad3d_backward_out_kernelIN3c107complexIdEEEEvN5torch10headeronly6detail27GenericPackedTensorAccessorINS8_14TensorAccessorINS3_8ArrayRefIlEET_Lm4ENS7_16DefaultPtrTraitsElEENS_6detail16IndexBoundsCheckILm5ElEESD_Lm5ESE_lEENS9_INSA_ISC_KSD_Lm4ESE_lEESI_SK_Lm5ESE_lEElllll,comdat
.Lfunc_end70:
	.size	_ZN2at6native12_GLOBAL__N_136reflection_pad3d_backward_out_kernelIN3c107complexIdEEEEvN5torch10headeronly6detail27GenericPackedTensorAccessorINS8_14TensorAccessorINS3_8ArrayRefIlEET_Lm4ENS7_16DefaultPtrTraitsElEENS_6detail16IndexBoundsCheckILm5ElEESD_Lm5ESE_lEENS9_INSA_ISC_KSD_Lm4ESE_lEESI_SK_Lm5ESE_lEElllll, .Lfunc_end70-_ZN2at6native12_GLOBAL__N_136reflection_pad3d_backward_out_kernelIN3c107complexIdEEEEvN5torch10headeronly6detail27GenericPackedTensorAccessorINS8_14TensorAccessorINS3_8ArrayRefIlEET_Lm4ENS7_16DefaultPtrTraitsElEENS_6detail16IndexBoundsCheckILm5ElEESD_Lm5ESE_lEENS9_INSA_ISC_KSD_Lm4ESE_lEESI_SK_Lm5ESE_lEElllll
                                        ; -- End function
	.set _ZN2at6native12_GLOBAL__N_136reflection_pad3d_backward_out_kernelIN3c107complexIdEEEEvN5torch10headeronly6detail27GenericPackedTensorAccessorINS8_14TensorAccessorINS3_8ArrayRefIlEET_Lm4ENS7_16DefaultPtrTraitsElEENS_6detail16IndexBoundsCheckILm5ElEESD_Lm5ESE_lEENS9_INSA_ISC_KSD_Lm4ESE_lEESI_SK_Lm5ESE_lEElllll.num_vgpr, 19
	.set _ZN2at6native12_GLOBAL__N_136reflection_pad3d_backward_out_kernelIN3c107complexIdEEEEvN5torch10headeronly6detail27GenericPackedTensorAccessorINS8_14TensorAccessorINS3_8ArrayRefIlEET_Lm4ENS7_16DefaultPtrTraitsElEENS_6detail16IndexBoundsCheckILm5ElEESD_Lm5ESE_lEENS9_INSA_ISC_KSD_Lm4ESE_lEESI_SK_Lm5ESE_lEElllll.num_agpr, 0
	.set _ZN2at6native12_GLOBAL__N_136reflection_pad3d_backward_out_kernelIN3c107complexIdEEEEvN5torch10headeronly6detail27GenericPackedTensorAccessorINS8_14TensorAccessorINS3_8ArrayRefIlEET_Lm4ENS7_16DefaultPtrTraitsElEENS_6detail16IndexBoundsCheckILm5ElEESD_Lm5ESE_lEENS9_INSA_ISC_KSD_Lm4ESE_lEESI_SK_Lm5ESE_lEElllll.numbered_sgpr, 57
	.set _ZN2at6native12_GLOBAL__N_136reflection_pad3d_backward_out_kernelIN3c107complexIdEEEEvN5torch10headeronly6detail27GenericPackedTensorAccessorINS8_14TensorAccessorINS3_8ArrayRefIlEET_Lm4ENS7_16DefaultPtrTraitsElEENS_6detail16IndexBoundsCheckILm5ElEESD_Lm5ESE_lEENS9_INSA_ISC_KSD_Lm4ESE_lEESI_SK_Lm5ESE_lEElllll.num_named_barrier, 0
	.set _ZN2at6native12_GLOBAL__N_136reflection_pad3d_backward_out_kernelIN3c107complexIdEEEEvN5torch10headeronly6detail27GenericPackedTensorAccessorINS8_14TensorAccessorINS3_8ArrayRefIlEET_Lm4ENS7_16DefaultPtrTraitsElEENS_6detail16IndexBoundsCheckILm5ElEESD_Lm5ESE_lEENS9_INSA_ISC_KSD_Lm4ESE_lEESI_SK_Lm5ESE_lEElllll.private_seg_size, 0
	.set _ZN2at6native12_GLOBAL__N_136reflection_pad3d_backward_out_kernelIN3c107complexIdEEEEvN5torch10headeronly6detail27GenericPackedTensorAccessorINS8_14TensorAccessorINS3_8ArrayRefIlEET_Lm4ENS7_16DefaultPtrTraitsElEENS_6detail16IndexBoundsCheckILm5ElEESD_Lm5ESE_lEENS9_INSA_ISC_KSD_Lm4ESE_lEESI_SK_Lm5ESE_lEElllll.uses_vcc, 1
	.set _ZN2at6native12_GLOBAL__N_136reflection_pad3d_backward_out_kernelIN3c107complexIdEEEEvN5torch10headeronly6detail27GenericPackedTensorAccessorINS8_14TensorAccessorINS3_8ArrayRefIlEET_Lm4ENS7_16DefaultPtrTraitsElEENS_6detail16IndexBoundsCheckILm5ElEESD_Lm5ESE_lEENS9_INSA_ISC_KSD_Lm4ESE_lEESI_SK_Lm5ESE_lEElllll.uses_flat_scratch, 0
	.set _ZN2at6native12_GLOBAL__N_136reflection_pad3d_backward_out_kernelIN3c107complexIdEEEEvN5torch10headeronly6detail27GenericPackedTensorAccessorINS8_14TensorAccessorINS3_8ArrayRefIlEET_Lm4ENS7_16DefaultPtrTraitsElEENS_6detail16IndexBoundsCheckILm5ElEESD_Lm5ESE_lEENS9_INSA_ISC_KSD_Lm4ESE_lEESI_SK_Lm5ESE_lEElllll.has_dyn_sized_stack, 0
	.set _ZN2at6native12_GLOBAL__N_136reflection_pad3d_backward_out_kernelIN3c107complexIdEEEEvN5torch10headeronly6detail27GenericPackedTensorAccessorINS8_14TensorAccessorINS3_8ArrayRefIlEET_Lm4ENS7_16DefaultPtrTraitsElEENS_6detail16IndexBoundsCheckILm5ElEESD_Lm5ESE_lEENS9_INSA_ISC_KSD_Lm4ESE_lEESI_SK_Lm5ESE_lEElllll.has_recursion, 0
	.set _ZN2at6native12_GLOBAL__N_136reflection_pad3d_backward_out_kernelIN3c107complexIdEEEEvN5torch10headeronly6detail27GenericPackedTensorAccessorINS8_14TensorAccessorINS3_8ArrayRefIlEET_Lm4ENS7_16DefaultPtrTraitsElEENS_6detail16IndexBoundsCheckILm5ElEESD_Lm5ESE_lEENS9_INSA_ISC_KSD_Lm4ESE_lEESI_SK_Lm5ESE_lEElllll.has_indirect_call, 0
	.section	.AMDGPU.csdata,"",@progbits
; Kernel info:
; codeLenInByte = 3656
; TotalNumSgprs: 63
; NumVgprs: 19
; NumAgprs: 0
; TotalNumVgprs: 19
; ScratchSize: 0
; MemoryBound: 0
; FloatMode: 240
; IeeeMode: 1
; LDSByteSize: 0 bytes/workgroup (compile time only)
; SGPRBlocks: 7
; VGPRBlocks: 2
; NumSGPRsForWavesPerEU: 63
; NumVGPRsForWavesPerEU: 19
; AccumOffset: 20
; Occupancy: 8
; WaveLimiterHint : 0
; COMPUTE_PGM_RSRC2:SCRATCH_EN: 0
; COMPUTE_PGM_RSRC2:USER_SGPR: 2
; COMPUTE_PGM_RSRC2:TRAP_HANDLER: 0
; COMPUTE_PGM_RSRC2:TGID_X_EN: 1
; COMPUTE_PGM_RSRC2:TGID_Y_EN: 1
; COMPUTE_PGM_RSRC2:TGID_Z_EN: 1
; COMPUTE_PGM_RSRC2:TIDIG_COMP_CNT: 0
; COMPUTE_PGM_RSRC3_GFX90A:ACCUM_OFFSET: 4
; COMPUTE_PGM_RSRC3_GFX90A:TG_SPLIT: 0
	.section	.text._ZN2at6native12_GLOBAL__N_136reflection_pad3d_backward_out_kernelIN3c107complexIfEEEEvN5torch10headeronly6detail27GenericPackedTensorAccessorINS8_14TensorAccessorINS3_8ArrayRefIlEET_Lm4ENS7_16DefaultPtrTraitsElEENS_6detail16IndexBoundsCheckILm5ElEESD_Lm5ESE_lEENS9_INSA_ISC_KSD_Lm4ESE_lEESI_SK_Lm5ESE_lEElllll,"axG",@progbits,_ZN2at6native12_GLOBAL__N_136reflection_pad3d_backward_out_kernelIN3c107complexIfEEEEvN5torch10headeronly6detail27GenericPackedTensorAccessorINS8_14TensorAccessorINS3_8ArrayRefIlEET_Lm4ENS7_16DefaultPtrTraitsElEENS_6detail16IndexBoundsCheckILm5ElEESD_Lm5ESE_lEENS9_INSA_ISC_KSD_Lm4ESE_lEESI_SK_Lm5ESE_lEElllll,comdat
	.globl	_ZN2at6native12_GLOBAL__N_136reflection_pad3d_backward_out_kernelIN3c107complexIfEEEEvN5torch10headeronly6detail27GenericPackedTensorAccessorINS8_14TensorAccessorINS3_8ArrayRefIlEET_Lm4ENS7_16DefaultPtrTraitsElEENS_6detail16IndexBoundsCheckILm5ElEESD_Lm5ESE_lEENS9_INSA_ISC_KSD_Lm4ESE_lEESI_SK_Lm5ESE_lEElllll ; -- Begin function _ZN2at6native12_GLOBAL__N_136reflection_pad3d_backward_out_kernelIN3c107complexIfEEEEvN5torch10headeronly6detail27GenericPackedTensorAccessorINS8_14TensorAccessorINS3_8ArrayRefIlEET_Lm4ENS7_16DefaultPtrTraitsElEENS_6detail16IndexBoundsCheckILm5ElEESD_Lm5ESE_lEENS9_INSA_ISC_KSD_Lm4ESE_lEESI_SK_Lm5ESE_lEElllll
	.p2align	8
	.type	_ZN2at6native12_GLOBAL__N_136reflection_pad3d_backward_out_kernelIN3c107complexIfEEEEvN5torch10headeronly6detail27GenericPackedTensorAccessorINS8_14TensorAccessorINS3_8ArrayRefIlEET_Lm4ENS7_16DefaultPtrTraitsElEENS_6detail16IndexBoundsCheckILm5ElEESD_Lm5ESE_lEENS9_INSA_ISC_KSD_Lm4ESE_lEESI_SK_Lm5ESE_lEElllll,@function
_ZN2at6native12_GLOBAL__N_136reflection_pad3d_backward_out_kernelIN3c107complexIfEEEEvN5torch10headeronly6detail27GenericPackedTensorAccessorINS8_14TensorAccessorINS3_8ArrayRefIlEET_Lm4ENS7_16DefaultPtrTraitsElEENS_6detail16IndexBoundsCheckILm5ElEESD_Lm5ESE_lEENS9_INSA_ISC_KSD_Lm4ESE_lEESI_SK_Lm5ESE_lEElllll: ; @_ZN2at6native12_GLOBAL__N_136reflection_pad3d_backward_out_kernelIN3c107complexIfEEEEvN5torch10headeronly6detail27GenericPackedTensorAccessorINS8_14TensorAccessorINS3_8ArrayRefIlEET_Lm4ENS7_16DefaultPtrTraitsElEENS_6detail16IndexBoundsCheckILm5ElEESD_Lm5ESE_lEENS9_INSA_ISC_KSD_Lm4ESE_lEESI_SK_Lm5ESE_lEElllll
; %bb.0:
	s_load_dword s5, s[0:1], 0xe4
	s_load_dwordx4 s[8:11], s[0:1], 0x70
	s_load_dwordx2 s[34:35], s[0:1], 0x80
	v_mov_b32_e32 v2, 0
	v_mov_b32_e32 v1, v2
	s_waitcnt lgkmcnt(0)
	s_and_b32 s5, s5, 0xffff
	v_mov_b32_e32 v3, s2
	v_mad_u64_u32 v[0:1], s[6:7], s5, v3, v[0:1]
	s_mul_i32 s2, s34, s11
	s_mul_hi_u32 s5, s34, s10
	s_add_i32 s5, s5, s2
	s_mul_i32 s2, s35, s10
	s_add_i32 s5, s5, s2
	s_mul_i32 s2, s34, s10
	s_mul_i32 s6, s2, s9
	s_mul_hi_u32 s7, s2, s8
	s_add_i32 s6, s7, s6
	s_mul_i32 s7, s5, s8
	s_add_i32 s7, s6, s7
	s_mul_i32 s6, s2, s8
	v_cmp_gt_i64_e32 vcc, s[6:7], v[0:1]
	s_and_saveexec_b64 s[6:7], vcc
	s_cbranch_execz .LBB71_14
; %bb.1:
	v_or_b32_e32 v3, s35, v1
	v_cmp_ne_u64_e32 vcc, 0, v[2:3]
	v_ashrrev_i32_e32 v2, 31, v1
                                        ; implicit-def: $vgpr6_vgpr7
	s_and_saveexec_b64 s[6:7], vcc
	s_xor_b64 s[8:9], exec, s[6:7]
	s_cbranch_execz .LBB71_3
; %bb.2:
	s_ashr_i32 s12, s35, 31
	s_add_u32 s6, s34, s12
	s_mov_b32 s13, s12
	s_addc_u32 s7, s35, s12
	s_xor_b64 s[14:15], s[6:7], s[12:13]
	v_cvt_f32_u32_e32 v3, s14
	v_cvt_f32_u32_e32 v4, s15
	s_sub_u32 s13, 0, s14
	s_subb_u32 s16, 0, s15
	v_mov_b32_e32 v7, 0
	v_fmamk_f32 v3, v4, 0x4f800000, v3
	v_rcp_f32_e32 v3, v3
	s_nop 0
	v_mul_f32_e32 v3, 0x5f7ffffc, v3
	v_mul_f32_e32 v4, 0x2f800000, v3
	v_trunc_f32_e32 v4, v4
	v_fmamk_f32 v3, v4, 0xcf800000, v3
	v_cvt_u32_f32_e32 v4, v4
	v_cvt_u32_f32_e32 v3, v3
	v_readfirstlane_b32 s17, v4
	v_readfirstlane_b32 s6, v3
	s_mul_i32 s7, s13, s17
	s_mul_hi_u32 s19, s13, s6
	s_mul_i32 s18, s16, s6
	s_add_i32 s7, s19, s7
	s_add_i32 s7, s7, s18
	s_mul_i32 s20, s13, s6
	s_mul_i32 s19, s6, s7
	s_mul_hi_u32 s21, s6, s20
	s_mul_hi_u32 s18, s6, s7
	s_add_u32 s19, s21, s19
	s_addc_u32 s18, 0, s18
	s_mul_hi_u32 s22, s17, s20
	s_mul_i32 s20, s17, s20
	s_add_u32 s19, s19, s20
	s_mul_hi_u32 s21, s17, s7
	s_addc_u32 s18, s18, s22
	s_addc_u32 s19, s21, 0
	s_mul_i32 s7, s17, s7
	s_add_u32 s7, s18, s7
	s_addc_u32 s18, 0, s19
	s_add_u32 s19, s6, s7
	s_cselect_b64 s[6:7], -1, 0
	s_cmp_lg_u64 s[6:7], 0
	s_addc_u32 s17, s17, s18
	s_mul_i32 s6, s13, s17
	s_mul_hi_u32 s7, s13, s19
	s_add_i32 s6, s7, s6
	s_mul_i32 s16, s16, s19
	s_add_i32 s6, s6, s16
	s_mul_i32 s13, s13, s19
	s_mul_hi_u32 s16, s17, s13
	s_mul_i32 s18, s17, s13
	s_mul_i32 s21, s19, s6
	s_mul_hi_u32 s13, s19, s13
	s_mul_hi_u32 s20, s19, s6
	s_add_u32 s13, s13, s21
	s_addc_u32 s20, 0, s20
	s_add_u32 s13, s13, s18
	s_mul_hi_u32 s7, s17, s6
	s_addc_u32 s13, s20, s16
	s_addc_u32 s7, s7, 0
	s_mul_i32 s6, s17, s6
	s_add_u32 s6, s13, s6
	s_addc_u32 s13, 0, s7
	s_add_u32 s16, s19, s6
	s_cselect_b64 s[6:7], -1, 0
	v_mov_b32_e32 v3, v2
	s_cmp_lg_u64 s[6:7], 0
	v_lshl_add_u64 v[4:5], v[0:1], 0, v[2:3]
	s_addc_u32 s13, s17, s13
	v_xor_b32_e32 v12, v4, v2
	v_xor_b32_e32 v3, v5, v2
	v_mad_u64_u32 v[4:5], s[6:7], v12, s13, 0
	v_mul_hi_u32 v6, v12, s16
	v_lshl_add_u64 v[4:5], v[6:7], 0, v[4:5]
	v_mad_u64_u32 v[10:11], s[6:7], v3, s16, 0
	v_add_co_u32_e32 v4, vcc, v4, v10
	v_mad_u64_u32 v[8:9], s[6:7], v3, s13, 0
	s_nop 0
	v_addc_co_u32_e32 v6, vcc, v5, v11, vcc
	s_nop 1
	v_addc_co_u32_e32 v9, vcc, 0, v9, vcc
	v_lshl_add_u64 v[4:5], v[6:7], 0, v[8:9]
	v_mul_lo_u32 v8, s15, v4
	v_mul_lo_u32 v9, s14, v5
	v_mad_u64_u32 v[6:7], s[6:7], s14, v4, 0
	v_add3_u32 v10, v7, v9, v8
	v_sub_u32_e32 v7, v3, v10
	v_mov_b32_e32 v8, s15
	v_sub_co_u32_e32 v11, vcc, v12, v6
	s_nop 1
	v_subb_co_u32_e64 v6, s[6:7], v7, v8, vcc
	v_subrev_co_u32_e64 v7, s[6:7], s14, v11
	v_subb_co_u32_e32 v3, vcc, v3, v10, vcc
	s_nop 0
	v_subbrev_co_u32_e64 v6, s[6:7], 0, v6, s[6:7]
	v_cmp_le_u32_e64 s[6:7], s15, v6
	v_cmp_le_u32_e32 vcc, s15, v3
	s_nop 0
	v_cndmask_b32_e64 v8, 0, -1, s[6:7]
	v_cmp_le_u32_e64 s[6:7], s14, v7
	s_nop 1
	v_cndmask_b32_e64 v7, 0, -1, s[6:7]
	v_cmp_eq_u32_e64 s[6:7], s15, v6
	s_nop 1
	v_cndmask_b32_e64 v12, v8, v7, s[6:7]
	v_lshl_add_u64 v[6:7], v[4:5], 0, 2
	v_lshl_add_u64 v[8:9], v[4:5], 0, 1
	v_cmp_ne_u32_e64 s[6:7], 0, v12
	s_nop 1
	v_cndmask_b32_e64 v7, v9, v7, s[6:7]
	v_cndmask_b32_e64 v9, 0, -1, vcc
	v_cmp_le_u32_e32 vcc, s14, v11
	s_nop 1
	v_cndmask_b32_e64 v10, 0, -1, vcc
	v_cmp_eq_u32_e32 vcc, s15, v3
	s_nop 1
	v_cndmask_b32_e32 v3, v9, v10, vcc
	v_cmp_ne_u32_e32 vcc, 0, v3
	s_nop 1
	v_cndmask_b32_e32 v3, v5, v7, vcc
	v_cndmask_b32_e64 v5, v8, v6, s[6:7]
	v_cndmask_b32_e32 v4, v4, v5, vcc
	v_xor_b32_e32 v5, s12, v2
	v_xor_b32_e32 v4, v4, v5
	;; [unrolled: 1-line block ×3, first 2 shown]
	v_sub_co_u32_e32 v6, vcc, v4, v5
	s_nop 1
	v_subb_co_u32_e32 v7, vcc, v3, v5, vcc
.LBB71_3:
	s_andn2_saveexec_b64 s[6:7], s[8:9]
	s_cbranch_execz .LBB71_5
; %bb.4:
	v_cvt_f32_u32_e32 v3, s34
	s_sub_i32 s8, 0, s34
	v_mov_b32_e32 v7, 0
	v_rcp_iflag_f32_e32 v3, v3
	s_nop 0
	v_mul_f32_e32 v3, 0x4f7ffffe, v3
	v_cvt_u32_f32_e32 v3, v3
	v_mul_lo_u32 v4, s8, v3
	v_mul_hi_u32 v4, v3, v4
	v_add_u32_e32 v3, v3, v4
	v_mul_hi_u32 v3, v0, v3
	v_mul_lo_u32 v4, v3, s34
	v_sub_u32_e32 v4, v0, v4
	v_add_u32_e32 v5, 1, v3
	v_subrev_u32_e32 v6, s34, v4
	v_cmp_le_u32_e32 vcc, s34, v4
	s_nop 1
	v_cndmask_b32_e32 v4, v4, v6, vcc
	v_cndmask_b32_e32 v3, v3, v5, vcc
	v_add_u32_e32 v5, 1, v3
	v_cmp_le_u32_e32 vcc, s34, v4
	s_nop 1
	v_cndmask_b32_e32 v6, v3, v5, vcc
.LBB71_5:
	s_or_b64 exec, exec, s[6:7]
	v_or_b32_e32 v9, s11, v7
	v_mov_b32_e32 v8, 0
	v_cmp_ne_u64_e32 vcc, 0, v[8:9]
                                        ; implicit-def: $vgpr4_vgpr5
	s_and_saveexec_b64 s[6:7], vcc
	s_xor_b64 s[12:13], exec, s[6:7]
	s_cbranch_execz .LBB71_7
; %bb.6:
	s_ashr_i32 s6, s11, 31
	s_add_u32 s8, s10, s6
	s_mov_b32 s7, s6
	s_addc_u32 s9, s11, s6
	s_xor_b64 s[14:15], s[8:9], s[6:7]
	v_cvt_f32_u32_e32 v3, s14
	v_cvt_f32_u32_e32 v4, s15
	s_sub_u32 s8, 0, s14
	s_subb_u32 s9, 0, s15
	v_ashrrev_i32_e32 v10, 31, v7
	v_fmamk_f32 v3, v4, 0x4f800000, v3
	v_rcp_f32_e32 v3, v3
	v_mov_b32_e32 v11, v10
	v_mov_b32_e32 v13, v8
	v_mul_f32_e32 v3, 0x5f7ffffc, v3
	v_mul_f32_e32 v4, 0x2f800000, v3
	v_trunc_f32_e32 v4, v4
	v_fmamk_f32 v3, v4, 0xcf800000, v3
	v_cvt_u32_f32_e32 v4, v4
	v_cvt_u32_f32_e32 v3, v3
	v_readfirstlane_b32 s11, v4
	v_readfirstlane_b32 s6, v3
	s_mul_i32 s7, s8, s11
	s_mul_hi_u32 s17, s8, s6
	s_mul_i32 s16, s9, s6
	s_add_i32 s7, s17, s7
	s_add_i32 s7, s7, s16
	s_mul_i32 s18, s8, s6
	s_mul_i32 s17, s6, s7
	s_mul_hi_u32 s19, s6, s18
	s_mul_hi_u32 s16, s6, s7
	s_add_u32 s17, s19, s17
	s_addc_u32 s16, 0, s16
	s_mul_hi_u32 s20, s11, s18
	s_mul_i32 s18, s11, s18
	s_add_u32 s17, s17, s18
	s_mul_hi_u32 s19, s11, s7
	s_addc_u32 s16, s16, s20
	s_addc_u32 s17, s19, 0
	s_mul_i32 s7, s11, s7
	s_add_u32 s7, s16, s7
	s_addc_u32 s16, 0, s17
	s_add_u32 s17, s6, s7
	s_cselect_b64 s[6:7], -1, 0
	s_cmp_lg_u64 s[6:7], 0
	s_addc_u32 s11, s11, s16
	s_mul_i32 s6, s8, s11
	s_mul_hi_u32 s7, s8, s17
	s_add_i32 s6, s7, s6
	s_mul_i32 s9, s9, s17
	s_add_i32 s6, s6, s9
	s_mul_i32 s8, s8, s17
	s_mul_hi_u32 s9, s11, s8
	s_mul_i32 s16, s11, s8
	s_mul_i32 s19, s17, s6
	s_mul_hi_u32 s8, s17, s8
	s_mul_hi_u32 s18, s17, s6
	s_add_u32 s8, s8, s19
	s_addc_u32 s18, 0, s18
	s_add_u32 s8, s8, s16
	s_mul_hi_u32 s7, s11, s6
	s_addc_u32 s8, s18, s9
	s_addc_u32 s7, s7, 0
	s_mul_i32 s6, s11, s6
	s_add_u32 s6, s8, s6
	s_addc_u32 s8, 0, s7
	s_add_u32 s9, s17, s6
	s_cselect_b64 s[6:7], -1, 0
	s_cmp_lg_u64 s[6:7], 0
	v_lshl_add_u64 v[4:5], v[6:7], 0, v[10:11]
	s_addc_u32 s8, s11, s8
	v_xor_b32_e32 v9, v4, v10
	v_xor_b32_e32 v3, v5, v10
	v_mad_u64_u32 v[4:5], s[6:7], v9, s8, 0
	v_mul_hi_u32 v12, v9, s9
	v_lshl_add_u64 v[4:5], v[12:13], 0, v[4:5]
	v_mad_u64_u32 v[14:15], s[6:7], v3, s9, 0
	v_add_co_u32_e32 v4, vcc, v4, v14
	v_mad_u64_u32 v[12:13], s[6:7], v3, s8, 0
	s_nop 0
	v_addc_co_u32_e32 v4, vcc, v5, v15, vcc
	v_mov_b32_e32 v5, v8
	s_nop 0
	v_addc_co_u32_e32 v13, vcc, 0, v13, vcc
	v_lshl_add_u64 v[4:5], v[4:5], 0, v[12:13]
	v_mul_lo_u32 v8, s15, v4
	v_mul_lo_u32 v11, s14, v5
	v_mad_u64_u32 v[4:5], s[6:7], s14, v4, 0
	v_add3_u32 v5, v5, v11, v8
	v_sub_u32_e32 v8, v3, v5
	v_mov_b32_e32 v11, s15
	v_sub_co_u32_e32 v4, vcc, v9, v4
	s_nop 1
	v_subb_co_u32_e64 v8, s[6:7], v8, v11, vcc
	v_subrev_co_u32_e64 v9, s[6:7], s14, v4
	v_subb_co_u32_e32 v3, vcc, v3, v5, vcc
	s_nop 0
	v_subbrev_co_u32_e64 v12, s[8:9], 0, v8, s[6:7]
	v_cmp_le_u32_e64 s[8:9], s15, v12
	v_subb_co_u32_e64 v8, s[6:7], v8, v11, s[6:7]
	s_nop 0
	v_cndmask_b32_e64 v13, 0, -1, s[8:9]
	v_cmp_le_u32_e64 s[8:9], s14, v9
	v_subrev_co_u32_e64 v11, s[6:7], s14, v9
	s_nop 0
	v_cndmask_b32_e64 v14, 0, -1, s[8:9]
	v_cmp_eq_u32_e64 s[8:9], s15, v12
	v_subbrev_co_u32_e64 v8, s[6:7], 0, v8, s[6:7]
	s_nop 0
	v_cndmask_b32_e64 v13, v13, v14, s[8:9]
	v_cmp_le_u32_e32 vcc, s15, v3
	v_cmp_ne_u32_e64 s[6:7], 0, v13
	s_nop 0
	v_cndmask_b32_e64 v5, 0, -1, vcc
	v_cmp_le_u32_e32 vcc, s14, v4
	v_cndmask_b32_e64 v8, v12, v8, s[6:7]
	s_nop 0
	v_cndmask_b32_e64 v12, 0, -1, vcc
	v_cmp_eq_u32_e32 vcc, s15, v3
	s_nop 1
	v_cndmask_b32_e32 v5, v5, v12, vcc
	v_cmp_ne_u32_e32 vcc, 0, v5
	v_cndmask_b32_e64 v5, v9, v11, s[6:7]
	s_nop 0
	v_cndmask_b32_e32 v4, v4, v5, vcc
	v_cndmask_b32_e32 v3, v3, v8, vcc
	v_xor_b32_e32 v4, v4, v10
	v_xor_b32_e32 v3, v3, v10
	v_sub_co_u32_e32 v4, vcc, v4, v10
	s_nop 1
	v_subb_co_u32_e32 v5, vcc, v3, v10, vcc
.LBB71_7:
	s_or_saveexec_b64 s[6:7], s[12:13]
	s_load_dwordx2 s[46:47], s[0:1], 0xa8
	s_load_dwordx8 s[24:31], s[0:1], 0x88
	s_xor_b64 exec, exec, s[6:7]
	s_cbranch_execz .LBB71_9
; %bb.8:
	v_cvt_f32_u32_e32 v3, s10
	s_sub_i32 s8, 0, s10
	v_mov_b32_e32 v5, 0
	v_rcp_iflag_f32_e32 v3, v3
	s_nop 0
	v_mul_f32_e32 v3, 0x4f7ffffe, v3
	v_cvt_u32_f32_e32 v3, v3
	v_mul_lo_u32 v4, s8, v3
	v_mul_hi_u32 v4, v3, v4
	v_add_u32_e32 v3, v3, v4
	v_mul_hi_u32 v3, v6, v3
	v_mul_lo_u32 v3, v3, s10
	v_sub_u32_e32 v3, v6, v3
	v_subrev_u32_e32 v4, s10, v3
	v_cmp_le_u32_e32 vcc, s10, v3
	s_nop 1
	v_cndmask_b32_e32 v3, v3, v4, vcc
	v_subrev_u32_e32 v4, s10, v3
	v_cmp_le_u32_e32 vcc, s10, v3
	s_nop 1
	v_cndmask_b32_e32 v4, v3, v4, vcc
.LBB71_9:
	s_or_b64 exec, exec, s[6:7]
	s_load_dwordx2 s[48:49], s[0:1], 0x58
	s_load_dwordx2 s[44:45], s[0:1], 0x0
	v_or_b32_e32 v11, s5, v1
	v_mov_b32_e32 v10, 0
	v_cmp_ne_u64_e32 vcc, 0, v[10:11]
                                        ; implicit-def: $vgpr8_vgpr9
	s_and_saveexec_b64 s[6:7], vcc
	s_xor_b64 s[8:9], exec, s[6:7]
	s_cbranch_execz .LBB71_11
; %bb.10:
	s_ashr_i32 s10, s5, 31
	s_add_u32 s6, s2, s10
	s_mov_b32 s11, s10
	s_addc_u32 s7, s5, s10
	s_xor_b64 s[12:13], s[6:7], s[10:11]
	v_cvt_f32_u32_e32 v3, s12
	v_cvt_f32_u32_e32 v8, s13
	s_sub_u32 s5, 0, s12
	s_subb_u32 s11, 0, s13
	v_mov_b32_e32 v13, v10
	v_fmamk_f32 v3, v8, 0x4f800000, v3
	v_rcp_f32_e32 v3, v3
	s_nop 0
	v_mul_f32_e32 v3, 0x5f7ffffc, v3
	v_mul_f32_e32 v8, 0x2f800000, v3
	v_trunc_f32_e32 v8, v8
	v_fmamk_f32 v3, v8, 0xcf800000, v3
	v_cvt_u32_f32_e32 v8, v8
	v_cvt_u32_f32_e32 v3, v3
	v_readfirstlane_b32 s14, v8
	v_readfirstlane_b32 s6, v3
	s_mul_i32 s7, s5, s14
	s_mul_hi_u32 s16, s5, s6
	s_mul_i32 s15, s11, s6
	s_add_i32 s7, s16, s7
	s_add_i32 s7, s7, s15
	s_mul_i32 s17, s5, s6
	s_mul_i32 s16, s6, s7
	s_mul_hi_u32 s18, s6, s17
	s_mul_hi_u32 s15, s6, s7
	s_add_u32 s16, s18, s16
	s_addc_u32 s15, 0, s15
	s_mul_hi_u32 s19, s14, s17
	s_mul_i32 s17, s14, s17
	s_add_u32 s16, s16, s17
	s_mul_hi_u32 s18, s14, s7
	s_addc_u32 s15, s15, s19
	s_addc_u32 s16, s18, 0
	s_mul_i32 s7, s14, s7
	s_add_u32 s7, s15, s7
	s_addc_u32 s15, 0, s16
	s_add_u32 s16, s6, s7
	s_cselect_b64 s[6:7], -1, 0
	s_cmp_lg_u64 s[6:7], 0
	s_addc_u32 s14, s14, s15
	s_mul_i32 s6, s5, s14
	s_mul_hi_u32 s7, s5, s16
	s_add_i32 s6, s7, s6
	s_mul_i32 s11, s11, s16
	s_add_i32 s6, s6, s11
	s_mul_i32 s5, s5, s16
	s_mul_hi_u32 s11, s14, s5
	s_mul_i32 s15, s14, s5
	s_mul_i32 s18, s16, s6
	s_mul_hi_u32 s5, s16, s5
	s_mul_hi_u32 s17, s16, s6
	s_add_u32 s5, s5, s18
	s_addc_u32 s17, 0, s17
	s_add_u32 s5, s5, s15
	s_mul_hi_u32 s7, s14, s6
	s_addc_u32 s5, s17, s11
	s_addc_u32 s7, s7, 0
	s_mul_i32 s6, s14, s6
	s_add_u32 s5, s5, s6
	s_addc_u32 s11, 0, s7
	s_add_u32 s5, s16, s5
	s_cselect_b64 s[6:7], -1, 0
	v_mov_b32_e32 v3, v2
	s_cmp_lg_u64 s[6:7], 0
	v_lshl_add_u64 v[8:9], v[0:1], 0, v[2:3]
	s_addc_u32 s11, s14, s11
	v_xor_b32_e32 v16, v8, v2
	v_xor_b32_e32 v3, v9, v2
	v_mad_u64_u32 v[8:9], s[6:7], v16, s11, 0
	v_mul_hi_u32 v12, v16, s5
	v_lshl_add_u64 v[8:9], v[12:13], 0, v[8:9]
	v_mad_u64_u32 v[14:15], s[6:7], v3, s5, 0
	v_add_co_u32_e32 v8, vcc, v8, v14
	v_mad_u64_u32 v[12:13], s[6:7], v3, s11, 0
	s_nop 0
	v_addc_co_u32_e32 v8, vcc, v9, v15, vcc
	v_mov_b32_e32 v9, v10
	s_nop 0
	v_addc_co_u32_e32 v13, vcc, 0, v13, vcc
	v_lshl_add_u64 v[8:9], v[8:9], 0, v[12:13]
	v_mul_lo_u32 v12, s13, v8
	v_mul_lo_u32 v13, s12, v9
	v_mad_u64_u32 v[10:11], s[6:7], s12, v8, 0
	v_add3_u32 v14, v11, v13, v12
	v_sub_u32_e32 v11, v3, v14
	v_mov_b32_e32 v12, s13
	v_sub_co_u32_e32 v15, vcc, v16, v10
	v_xor_b32_e32 v2, s10, v2
	s_nop 0
	v_subb_co_u32_e64 v10, s[6:7], v11, v12, vcc
	v_subrev_co_u32_e64 v11, s[6:7], s12, v15
	v_subb_co_u32_e32 v3, vcc, v3, v14, vcc
	s_nop 0
	v_subbrev_co_u32_e64 v10, s[6:7], 0, v10, s[6:7]
	v_cmp_le_u32_e64 s[6:7], s13, v10
	v_cmp_le_u32_e32 vcc, s13, v3
	s_nop 0
	v_cndmask_b32_e64 v12, 0, -1, s[6:7]
	v_cmp_le_u32_e64 s[6:7], s12, v11
	s_nop 1
	v_cndmask_b32_e64 v11, 0, -1, s[6:7]
	v_cmp_eq_u32_e64 s[6:7], s13, v10
	s_nop 1
	v_cndmask_b32_e64 v16, v12, v11, s[6:7]
	v_lshl_add_u64 v[10:11], v[8:9], 0, 2
	v_lshl_add_u64 v[12:13], v[8:9], 0, 1
	v_cmp_ne_u32_e64 s[6:7], 0, v16
	s_nop 1
	v_cndmask_b32_e64 v11, v13, v11, s[6:7]
	v_cndmask_b32_e64 v13, 0, -1, vcc
	v_cmp_le_u32_e32 vcc, s12, v15
	s_nop 1
	v_cndmask_b32_e64 v14, 0, -1, vcc
	v_cmp_eq_u32_e32 vcc, s13, v3
	s_nop 1
	v_cndmask_b32_e32 v3, v13, v14, vcc
	v_cmp_ne_u32_e32 vcc, 0, v3
	s_nop 1
	v_cndmask_b32_e32 v3, v9, v11, vcc
	v_cndmask_b32_e64 v9, v12, v10, s[6:7]
	v_cndmask_b32_e32 v8, v8, v9, vcc
	v_xor_b32_e32 v8, v8, v2
	v_xor_b32_e32 v3, v3, v2
	v_sub_co_u32_e32 v8, vcc, v8, v2
	s_nop 1
	v_subb_co_u32_e32 v9, vcc, v3, v2, vcc
.LBB71_11:
	s_or_saveexec_b64 s[6:7], s[8:9]
	s_load_dwordx16 s[8:23], s[0:1], 0x18
	s_xor_b64 exec, exec, s[6:7]
	s_cbranch_execz .LBB71_13
; %bb.12:
	v_cvt_f32_u32_e32 v2, s2
	s_sub_i32 s5, 0, s2
	v_rcp_iflag_f32_e32 v2, v2
	s_nop 0
	v_mul_f32_e32 v2, 0x4f7ffffe, v2
	v_cvt_u32_f32_e32 v2, v2
	v_mul_lo_u32 v3, s5, v2
	v_mul_hi_u32 v3, v2, v3
	v_add_u32_e32 v2, v2, v3
	v_mul_hi_u32 v2, v0, v2
	v_mul_lo_u32 v3, v2, s2
	v_sub_u32_e32 v3, v0, v3
	v_add_u32_e32 v8, 1, v2
	v_subrev_u32_e32 v9, s2, v3
	v_cmp_le_u32_e32 vcc, s2, v3
	s_nop 1
	v_cndmask_b32_e32 v3, v3, v9, vcc
	v_cndmask_b32_e32 v2, v2, v8, vcc
	v_add_u32_e32 v8, 1, v2
	v_cmp_le_u32_e32 vcc, s2, v3
	v_mov_b32_e32 v9, 0
	s_nop 0
	v_cndmask_b32_e32 v8, v2, v8, vcc
.LBB71_13:
	s_or_b64 exec, exec, s[6:7]
	s_load_dwordx8 s[36:43], s[0:1], 0xb0
	v_mad_u64_u32 v[2:3], s[6:7], v6, s34, 0
	v_mul_lo_u32 v7, v7, s34
	v_mul_lo_u32 v10, v6, s35
	s_waitcnt lgkmcnt(0)
	s_sub_u32 s6, 0, s36
	s_subb_u32 s7, 0, s37
	s_sub_u32 s34, 0, s38
	s_subb_u32 s35, 0, s39
	;; [unrolled: 2-line block ×3, first 2 shown]
	v_cmp_gt_i64_e64 s[52:53], s[6:7], 0
	s_and_b64 s[52:53], s[52:53], exec
	s_cselect_b32 s2, s7, 0
	s_cselect_b32 s5, s6, 0
	v_cmp_gt_i64_e64 s[6:7], s[36:37], 0
	s_and_b64 s[6:7], s[6:7], exec
	v_cmp_gt_i64_e64 s[6:7], s[34:35], 0
	s_cselect_b32 s53, s37, 0
	s_cselect_b32 s52, s36, 0
	s_and_b64 s[6:7], s[6:7], exec
	v_add3_u32 v3, v3, v10, v7
	v_sub_co_u32_e32 v0, vcc, v0, v2
	v_cmp_gt_i64_e64 s[6:7], s[38:39], 0
	s_nop 0
	v_subb_co_u32_e32 v1, vcc, v1, v3, vcc
	s_cselect_b32 s33, s35, 0
	s_cselect_b32 s54, s34, 0
	s_and_b64 s[6:7], s[6:7], exec
	v_cmp_gt_i64_e64 s[6:7], s[50:51], 0
	v_mov_b32_e32 v2, s37
	v_subrev_co_u32_e32 v3, vcc, s36, v0
	s_cselect_b32 s35, s39, 0
	s_cselect_b32 s34, s38, 0
	s_and_b64 s[6:7], s[6:7], exec
	v_subb_co_u32_e32 v2, vcc, v1, v2, vcc
	v_cmp_gt_i64_e64 s[6:7], s[40:41], 0
	v_ashrrev_i32_e32 v6, 31, v2
	s_cselect_b32 s55, s51, 0
	s_cselect_b32 s56, s50, 0
	s_and_b64 s[6:7], s[6:7], exec
	v_xor_b32_e32 v7, v2, v6
	v_xor_b32_e32 v2, v3, v6
	s_cselect_b32 s7, s41, 0
	s_cselect_b32 s6, s40, 0
	v_sub_co_u32_e32 v2, vcc, v2, v6
	s_add_u32 s50, s36, s12
	s_nop 0
	v_subb_co_u32_e32 v3, vcc, v7, v6, vcc
	s_addc_u32 s51, s37, s13
	v_mov_b32_e32 v7, s51
	v_subrev_co_u32_e32 v6, vcc, s50, v0
	s_lshl_b64 s[36:37], s[36:37], 1
	s_nop 0
	v_subb_co_u32_e32 v7, vcc, v1, v7, vcc
	s_not_b64 s[50:51], s[52:53]
	v_lshl_add_u64 v[6:7], v[6:7], 0, 1
	s_add_u32 s36, s36, s50
	v_ashrrev_i32_e32 v10, 31, v7
	s_addc_u32 s37, s37, s51
	v_xor_b32_e32 v6, v6, v10
	s_add_u32 s5, s36, s5
	v_xor_b32_e32 v7, v7, v10
	v_sub_co_u32_e32 v6, vcc, v6, v10
	s_addc_u32 s2, s37, s2
	s_nop 0
	v_subb_co_u32_e32 v7, vcc, v7, v10, vcc
	s_add_u32 s5, s5, s12
	s_addc_u32 s2, s2, s13
	v_lshl_add_u64 v[6:7], v[0:1], 0, v[6:7]
	v_mov_b32_e32 v10, s2
	v_sub_co_u32_e32 v6, vcc, s5, v6
	s_add_u32 s2, s38, s10
	s_nop 0
	v_subb_co_u32_e32 v7, vcc, v10, v7, vcc
	v_lshl_add_u64 v[2:3], v[6:7], 0, v[2:3]
	v_mov_b32_e32 v6, s39
	v_subrev_co_u32_e32 v7, vcc, s38, v4
	s_addc_u32 s5, s39, s11
	s_nop 0
	v_subb_co_u32_e32 v6, vcc, v5, v6, vcc
	v_ashrrev_i32_e32 v10, 31, v6
	v_xor_b32_e32 v11, v6, v10
	v_xor_b32_e32 v6, v7, v10
	v_sub_co_u32_e32 v6, vcc, v6, v10
	s_lshl_b64 s[12:13], s[38:39], 1
	s_nop 0
	v_subb_co_u32_e32 v7, vcc, v11, v10, vcc
	s_not_b64 s[34:35], s[34:35]
	v_subrev_co_u32_e32 v10, vcc, s2, v4
	s_add_u32 s2, s12, s34
	v_mov_b32_e32 v11, s5
	s_addc_u32 s5, s13, s35
	s_add_u32 s2, s2, s54
	s_addc_u32 s5, s5, s33
	s_add_u32 s12, s2, s10
	;; [unrolled: 2-line block ×3, first 2 shown]
	s_addc_u32 s33, s41, s9
	s_lshl_b64 s[10:11], s[40:41], 1
	s_not_b64 s[6:7], s[6:7]
	s_add_u32 s2, s10, s6
	s_addc_u32 s6, s11, s7
	s_add_u32 s2, s2, s56
	s_load_dwordx2 s[0:1], s[0:1], 0xd0
	s_addc_u32 s6, s6, s55
	s_add_u32 s7, s2, s8
	s_addc_u32 s6, s6, s9
	s_add_u32 s8, s42, s3
	s_addc_u32 s9, s43, 0
	s_waitcnt lgkmcnt(0)
	s_add_u32 s4, s0, s4
	s_addc_u32 s10, s1, 0
	s_mul_i32 s0, s24, s10
	s_mul_hi_u32 s1, s24, s4
	s_add_i32 s0, s1, s0
	s_mul_i32 s1, s25, s4
	s_add_i32 s1, s0, s1
	s_mul_i32 s0, s24, s4
	s_lshl_b64 s[0:1], s[0:1], 3
	s_add_u32 s2, s48, s0
	s_addc_u32 s3, s49, s1
	s_mul_i32 s0, s26, s9
	s_mul_hi_u32 s1, s26, s8
	s_add_i32 s0, s1, s0
	s_mul_i32 s1, s27, s8
	v_subb_co_u32_e32 v11, vcc, v5, v11, vcc
	s_add_i32 s1, s0, s1
	s_mul_i32 s0, s26, s8
	v_lshl_add_u64 v[10:11], v[10:11], 0, 1
	s_lshl_b64 s[0:1], s[0:1], 3
	v_ashrrev_i32_e32 v14, 31, v11
	s_add_u32 s0, s2, s0
	v_xor_b32_e32 v15, v11, v14
	v_xor_b32_e32 v16, v10, v14
	s_addc_u32 s1, s3, s1
	v_mul_lo_u32 v12, v9, s28
	v_mul_lo_u32 v13, v8, s29
	v_mad_u64_u32 v[10:11], s[2:3], v8, s28, 0
	v_add3_u32 v11, v11, v13, v12
	v_lshl_add_u64 v[10:11], v[10:11], 3, s[0:1]
	v_mul_lo_u32 v17, v5, s30
	v_mul_lo_u32 v18, v4, s31
	v_mad_u64_u32 v[12:13], s[0:1], v4, s30, 0
	v_add3_u32 v13, v13, v18, v17
	v_lshl_add_u64 v[10:11], v[12:13], 3, v[10:11]
	;; [unrolled: 5-line block ×3, first 2 shown]
	global_load_dwordx2 v[0:1], v[0:1], off
	v_sub_co_u32_e32 v10, vcc, v16, v14
	s_mul_i32 s0, s14, s10
	s_nop 0
	v_subb_co_u32_e32 v11, vcc, v15, v14, vcc
	v_lshl_add_u64 v[4:5], v[4:5], 0, v[10:11]
	v_mov_b32_e32 v10, s5
	v_sub_co_u32_e32 v4, vcc, s12, v4
	s_mul_hi_u32 s1, s14, s4
	s_nop 0
	v_subb_co_u32_e32 v5, vcc, v10, v5, vcc
	v_lshl_add_u64 v[4:5], v[4:5], 0, v[6:7]
	v_mov_b32_e32 v6, s41
	v_subrev_co_u32_e32 v7, vcc, s40, v8
	s_add_i32 s0, s1, s0
	s_nop 0
	v_subb_co_u32_e32 v6, vcc, v9, v6, vcc
	v_ashrrev_i32_e32 v10, 31, v6
	v_xor_b32_e32 v11, v6, v10
	v_xor_b32_e32 v6, v7, v10
	v_sub_co_u32_e32 v6, vcc, v6, v10
	s_mul_i32 s1, s15, s4
	s_nop 0
	v_subb_co_u32_e32 v7, vcc, v11, v10, vcc
	v_mov_b32_e32 v11, s33
	v_subrev_co_u32_e32 v10, vcc, s13, v8
	s_add_i32 s1, s0, s1
	s_nop 0
	v_subb_co_u32_e32 v11, vcc, v9, v11, vcc
	v_lshl_add_u64 v[10:11], v[10:11], 0, 1
	v_ashrrev_i32_e32 v12, 31, v11
	s_mul_i32 s0, s14, s4
	v_xor_b32_e32 v10, v10, v12
	s_lshl_b64 s[0:1], s[0:1], 3
	v_xor_b32_e32 v11, v11, v12
	v_sub_co_u32_e32 v10, vcc, v10, v12
	s_add_u32 s2, s44, s0
	s_nop 0
	v_subb_co_u32_e32 v11, vcc, v11, v12, vcc
	s_addc_u32 s3, s45, s1
	s_mul_i32 s0, s16, s9
	s_mul_hi_u32 s1, s16, s8
	v_lshl_add_u64 v[8:9], v[8:9], 0, v[10:11]
	s_add_i32 s0, s1, s0
	s_mul_i32 s1, s17, s8
	v_mov_b32_e32 v10, s6
	v_sub_co_u32_e32 v8, vcc, s7, v8
	s_add_i32 s1, s0, s1
	s_mul_i32 s0, s16, s8
	v_subb_co_u32_e32 v9, vcc, v10, v9, vcc
	s_lshl_b64 s[0:1], s[0:1], 3
	v_lshl_add_u64 v[6:7], v[8:9], 0, v[6:7]
	s_add_u32 s0, s2, s0
	s_addc_u32 s1, s3, s1
	v_mul_lo_u32 v8, v7, s18
	v_mul_lo_u32 v9, v6, s19
	v_mad_u64_u32 v[6:7], s[2:3], v6, s18, 0
	v_add3_u32 v7, v7, v9, v8
	v_lshl_add_u64 v[6:7], v[6:7], 3, s[0:1]
	v_mul_lo_u32 v8, v5, s20
	v_mul_lo_u32 v9, v4, s21
	v_mad_u64_u32 v[4:5], s[0:1], v4, s20, 0
	v_add3_u32 v5, v5, v9, v8
	v_lshl_add_u64 v[4:5], v[4:5], 3, v[6:7]
	;; [unrolled: 5-line block ×3, first 2 shown]
	s_waitcnt vmcnt(0)
	global_atomic_add_f32 v[2:3], v0, off
	global_atomic_add_f32 v[2:3], v1, off offset:4
.LBB71_14:
	s_endpgm
	.section	.rodata,"a",@progbits
	.p2align	6, 0x0
	.amdhsa_kernel _ZN2at6native12_GLOBAL__N_136reflection_pad3d_backward_out_kernelIN3c107complexIfEEEEvN5torch10headeronly6detail27GenericPackedTensorAccessorINS8_14TensorAccessorINS3_8ArrayRefIlEET_Lm4ENS7_16DefaultPtrTraitsElEENS_6detail16IndexBoundsCheckILm5ElEESD_Lm5ESE_lEENS9_INSA_ISC_KSD_Lm4ESE_lEESI_SK_Lm5ESE_lEElllll
		.amdhsa_group_segment_fixed_size 0
		.amdhsa_private_segment_fixed_size 0
		.amdhsa_kernarg_size 472
		.amdhsa_user_sgpr_count 2
		.amdhsa_user_sgpr_dispatch_ptr 0
		.amdhsa_user_sgpr_queue_ptr 0
		.amdhsa_user_sgpr_kernarg_segment_ptr 1
		.amdhsa_user_sgpr_dispatch_id 0
		.amdhsa_user_sgpr_kernarg_preload_length 0
		.amdhsa_user_sgpr_kernarg_preload_offset 0
		.amdhsa_user_sgpr_private_segment_size 0
		.amdhsa_uses_dynamic_stack 0
		.amdhsa_enable_private_segment 0
		.amdhsa_system_sgpr_workgroup_id_x 1
		.amdhsa_system_sgpr_workgroup_id_y 1
		.amdhsa_system_sgpr_workgroup_id_z 1
		.amdhsa_system_sgpr_workgroup_info 0
		.amdhsa_system_vgpr_workitem_id 0
		.amdhsa_next_free_vgpr 19
		.amdhsa_next_free_sgpr 57
		.amdhsa_accum_offset 20
		.amdhsa_reserve_vcc 1
		.amdhsa_float_round_mode_32 0
		.amdhsa_float_round_mode_16_64 0
		.amdhsa_float_denorm_mode_32 3
		.amdhsa_float_denorm_mode_16_64 3
		.amdhsa_dx10_clamp 1
		.amdhsa_ieee_mode 1
		.amdhsa_fp16_overflow 0
		.amdhsa_tg_split 0
		.amdhsa_exception_fp_ieee_invalid_op 0
		.amdhsa_exception_fp_denorm_src 0
		.amdhsa_exception_fp_ieee_div_zero 0
		.amdhsa_exception_fp_ieee_overflow 0
		.amdhsa_exception_fp_ieee_underflow 0
		.amdhsa_exception_fp_ieee_inexact 0
		.amdhsa_exception_int_div_zero 0
	.end_amdhsa_kernel
	.section	.text._ZN2at6native12_GLOBAL__N_136reflection_pad3d_backward_out_kernelIN3c107complexIfEEEEvN5torch10headeronly6detail27GenericPackedTensorAccessorINS8_14TensorAccessorINS3_8ArrayRefIlEET_Lm4ENS7_16DefaultPtrTraitsElEENS_6detail16IndexBoundsCheckILm5ElEESD_Lm5ESE_lEENS9_INSA_ISC_KSD_Lm4ESE_lEESI_SK_Lm5ESE_lEElllll,"axG",@progbits,_ZN2at6native12_GLOBAL__N_136reflection_pad3d_backward_out_kernelIN3c107complexIfEEEEvN5torch10headeronly6detail27GenericPackedTensorAccessorINS8_14TensorAccessorINS3_8ArrayRefIlEET_Lm4ENS7_16DefaultPtrTraitsElEENS_6detail16IndexBoundsCheckILm5ElEESD_Lm5ESE_lEENS9_INSA_ISC_KSD_Lm4ESE_lEESI_SK_Lm5ESE_lEElllll,comdat
.Lfunc_end71:
	.size	_ZN2at6native12_GLOBAL__N_136reflection_pad3d_backward_out_kernelIN3c107complexIfEEEEvN5torch10headeronly6detail27GenericPackedTensorAccessorINS8_14TensorAccessorINS3_8ArrayRefIlEET_Lm4ENS7_16DefaultPtrTraitsElEENS_6detail16IndexBoundsCheckILm5ElEESD_Lm5ESE_lEENS9_INSA_ISC_KSD_Lm4ESE_lEESI_SK_Lm5ESE_lEElllll, .Lfunc_end71-_ZN2at6native12_GLOBAL__N_136reflection_pad3d_backward_out_kernelIN3c107complexIfEEEEvN5torch10headeronly6detail27GenericPackedTensorAccessorINS8_14TensorAccessorINS3_8ArrayRefIlEET_Lm4ENS7_16DefaultPtrTraitsElEENS_6detail16IndexBoundsCheckILm5ElEESD_Lm5ESE_lEENS9_INSA_ISC_KSD_Lm4ESE_lEESI_SK_Lm5ESE_lEElllll
                                        ; -- End function
	.set _ZN2at6native12_GLOBAL__N_136reflection_pad3d_backward_out_kernelIN3c107complexIfEEEEvN5torch10headeronly6detail27GenericPackedTensorAccessorINS8_14TensorAccessorINS3_8ArrayRefIlEET_Lm4ENS7_16DefaultPtrTraitsElEENS_6detail16IndexBoundsCheckILm5ElEESD_Lm5ESE_lEENS9_INSA_ISC_KSD_Lm4ESE_lEESI_SK_Lm5ESE_lEElllll.num_vgpr, 19
	.set _ZN2at6native12_GLOBAL__N_136reflection_pad3d_backward_out_kernelIN3c107complexIfEEEEvN5torch10headeronly6detail27GenericPackedTensorAccessorINS8_14TensorAccessorINS3_8ArrayRefIlEET_Lm4ENS7_16DefaultPtrTraitsElEENS_6detail16IndexBoundsCheckILm5ElEESD_Lm5ESE_lEENS9_INSA_ISC_KSD_Lm4ESE_lEESI_SK_Lm5ESE_lEElllll.num_agpr, 0
	.set _ZN2at6native12_GLOBAL__N_136reflection_pad3d_backward_out_kernelIN3c107complexIfEEEEvN5torch10headeronly6detail27GenericPackedTensorAccessorINS8_14TensorAccessorINS3_8ArrayRefIlEET_Lm4ENS7_16DefaultPtrTraitsElEENS_6detail16IndexBoundsCheckILm5ElEESD_Lm5ESE_lEENS9_INSA_ISC_KSD_Lm4ESE_lEESI_SK_Lm5ESE_lEElllll.numbered_sgpr, 57
	.set _ZN2at6native12_GLOBAL__N_136reflection_pad3d_backward_out_kernelIN3c107complexIfEEEEvN5torch10headeronly6detail27GenericPackedTensorAccessorINS8_14TensorAccessorINS3_8ArrayRefIlEET_Lm4ENS7_16DefaultPtrTraitsElEENS_6detail16IndexBoundsCheckILm5ElEESD_Lm5ESE_lEENS9_INSA_ISC_KSD_Lm4ESE_lEESI_SK_Lm5ESE_lEElllll.num_named_barrier, 0
	.set _ZN2at6native12_GLOBAL__N_136reflection_pad3d_backward_out_kernelIN3c107complexIfEEEEvN5torch10headeronly6detail27GenericPackedTensorAccessorINS8_14TensorAccessorINS3_8ArrayRefIlEET_Lm4ENS7_16DefaultPtrTraitsElEENS_6detail16IndexBoundsCheckILm5ElEESD_Lm5ESE_lEENS9_INSA_ISC_KSD_Lm4ESE_lEESI_SK_Lm5ESE_lEElllll.private_seg_size, 0
	.set _ZN2at6native12_GLOBAL__N_136reflection_pad3d_backward_out_kernelIN3c107complexIfEEEEvN5torch10headeronly6detail27GenericPackedTensorAccessorINS8_14TensorAccessorINS3_8ArrayRefIlEET_Lm4ENS7_16DefaultPtrTraitsElEENS_6detail16IndexBoundsCheckILm5ElEESD_Lm5ESE_lEENS9_INSA_ISC_KSD_Lm4ESE_lEESI_SK_Lm5ESE_lEElllll.uses_vcc, 1
	.set _ZN2at6native12_GLOBAL__N_136reflection_pad3d_backward_out_kernelIN3c107complexIfEEEEvN5torch10headeronly6detail27GenericPackedTensorAccessorINS8_14TensorAccessorINS3_8ArrayRefIlEET_Lm4ENS7_16DefaultPtrTraitsElEENS_6detail16IndexBoundsCheckILm5ElEESD_Lm5ESE_lEENS9_INSA_ISC_KSD_Lm4ESE_lEESI_SK_Lm5ESE_lEElllll.uses_flat_scratch, 0
	.set _ZN2at6native12_GLOBAL__N_136reflection_pad3d_backward_out_kernelIN3c107complexIfEEEEvN5torch10headeronly6detail27GenericPackedTensorAccessorINS8_14TensorAccessorINS3_8ArrayRefIlEET_Lm4ENS7_16DefaultPtrTraitsElEENS_6detail16IndexBoundsCheckILm5ElEESD_Lm5ESE_lEENS9_INSA_ISC_KSD_Lm4ESE_lEESI_SK_Lm5ESE_lEElllll.has_dyn_sized_stack, 0
	.set _ZN2at6native12_GLOBAL__N_136reflection_pad3d_backward_out_kernelIN3c107complexIfEEEEvN5torch10headeronly6detail27GenericPackedTensorAccessorINS8_14TensorAccessorINS3_8ArrayRefIlEET_Lm4ENS7_16DefaultPtrTraitsElEENS_6detail16IndexBoundsCheckILm5ElEESD_Lm5ESE_lEENS9_INSA_ISC_KSD_Lm4ESE_lEESI_SK_Lm5ESE_lEElllll.has_recursion, 0
	.set _ZN2at6native12_GLOBAL__N_136reflection_pad3d_backward_out_kernelIN3c107complexIfEEEEvN5torch10headeronly6detail27GenericPackedTensorAccessorINS8_14TensorAccessorINS3_8ArrayRefIlEET_Lm4ENS7_16DefaultPtrTraitsElEENS_6detail16IndexBoundsCheckILm5ElEESD_Lm5ESE_lEENS9_INSA_ISC_KSD_Lm4ESE_lEESI_SK_Lm5ESE_lEElllll.has_indirect_call, 0
	.section	.AMDGPU.csdata,"",@progbits
; Kernel info:
; codeLenInByte = 3656
; TotalNumSgprs: 63
; NumVgprs: 19
; NumAgprs: 0
; TotalNumVgprs: 19
; ScratchSize: 0
; MemoryBound: 0
; FloatMode: 240
; IeeeMode: 1
; LDSByteSize: 0 bytes/workgroup (compile time only)
; SGPRBlocks: 7
; VGPRBlocks: 2
; NumSGPRsForWavesPerEU: 63
; NumVGPRsForWavesPerEU: 19
; AccumOffset: 20
; Occupancy: 8
; WaveLimiterHint : 0
; COMPUTE_PGM_RSRC2:SCRATCH_EN: 0
; COMPUTE_PGM_RSRC2:USER_SGPR: 2
; COMPUTE_PGM_RSRC2:TRAP_HANDLER: 0
; COMPUTE_PGM_RSRC2:TGID_X_EN: 1
; COMPUTE_PGM_RSRC2:TGID_Y_EN: 1
; COMPUTE_PGM_RSRC2:TGID_Z_EN: 1
; COMPUTE_PGM_RSRC2:TIDIG_COMP_CNT: 0
; COMPUTE_PGM_RSRC3_GFX90A:ACCUM_OFFSET: 4
; COMPUTE_PGM_RSRC3_GFX90A:TG_SPLIT: 0
	.section	.text._ZN2at6native12_GLOBAL__N_136reflection_pad3d_backward_out_kernelIN3c104HalfEEEvN5torch10headeronly6detail27GenericPackedTensorAccessorINS7_14TensorAccessorINS3_8ArrayRefIlEET_Lm4ENS6_16DefaultPtrTraitsElEENS_6detail16IndexBoundsCheckILm5ElEESC_Lm5ESD_lEENS8_INS9_ISB_KSC_Lm4ESD_lEESH_SJ_Lm5ESD_lEElllll,"axG",@progbits,_ZN2at6native12_GLOBAL__N_136reflection_pad3d_backward_out_kernelIN3c104HalfEEEvN5torch10headeronly6detail27GenericPackedTensorAccessorINS7_14TensorAccessorINS3_8ArrayRefIlEET_Lm4ENS6_16DefaultPtrTraitsElEENS_6detail16IndexBoundsCheckILm5ElEESC_Lm5ESD_lEENS8_INS9_ISB_KSC_Lm4ESD_lEESH_SJ_Lm5ESD_lEElllll,comdat
	.globl	_ZN2at6native12_GLOBAL__N_136reflection_pad3d_backward_out_kernelIN3c104HalfEEEvN5torch10headeronly6detail27GenericPackedTensorAccessorINS7_14TensorAccessorINS3_8ArrayRefIlEET_Lm4ENS6_16DefaultPtrTraitsElEENS_6detail16IndexBoundsCheckILm5ElEESC_Lm5ESD_lEENS8_INS9_ISB_KSC_Lm4ESD_lEESH_SJ_Lm5ESD_lEElllll ; -- Begin function _ZN2at6native12_GLOBAL__N_136reflection_pad3d_backward_out_kernelIN3c104HalfEEEvN5torch10headeronly6detail27GenericPackedTensorAccessorINS7_14TensorAccessorINS3_8ArrayRefIlEET_Lm4ENS6_16DefaultPtrTraitsElEENS_6detail16IndexBoundsCheckILm5ElEESC_Lm5ESD_lEENS8_INS9_ISB_KSC_Lm4ESD_lEESH_SJ_Lm5ESD_lEElllll
	.p2align	8
	.type	_ZN2at6native12_GLOBAL__N_136reflection_pad3d_backward_out_kernelIN3c104HalfEEEvN5torch10headeronly6detail27GenericPackedTensorAccessorINS7_14TensorAccessorINS3_8ArrayRefIlEET_Lm4ENS6_16DefaultPtrTraitsElEENS_6detail16IndexBoundsCheckILm5ElEESC_Lm5ESD_lEENS8_INS9_ISB_KSC_Lm4ESD_lEESH_SJ_Lm5ESD_lEElllll,@function
_ZN2at6native12_GLOBAL__N_136reflection_pad3d_backward_out_kernelIN3c104HalfEEEvN5torch10headeronly6detail27GenericPackedTensorAccessorINS7_14TensorAccessorINS3_8ArrayRefIlEET_Lm4ENS6_16DefaultPtrTraitsElEENS_6detail16IndexBoundsCheckILm5ElEESC_Lm5ESD_lEENS8_INS9_ISB_KSC_Lm4ESD_lEESH_SJ_Lm5ESD_lEElllll: ; @_ZN2at6native12_GLOBAL__N_136reflection_pad3d_backward_out_kernelIN3c104HalfEEEvN5torch10headeronly6detail27GenericPackedTensorAccessorINS7_14TensorAccessorINS3_8ArrayRefIlEET_Lm4ENS6_16DefaultPtrTraitsElEENS_6detail16IndexBoundsCheckILm5ElEESC_Lm5ESD_lEENS8_INS9_ISB_KSC_Lm4ESD_lEESH_SJ_Lm5ESD_lEElllll
; %bb.0:
	s_load_dword s5, s[0:1], 0xe4
	s_load_dwordx4 s[8:11], s[0:1], 0x70
	s_load_dwordx2 s[34:35], s[0:1], 0x80
	v_mov_b32_e32 v2, 0
	v_mov_b32_e32 v1, v2
	s_waitcnt lgkmcnt(0)
	s_and_b32 s5, s5, 0xffff
	v_mov_b32_e32 v3, s2
	v_mad_u64_u32 v[0:1], s[6:7], s5, v3, v[0:1]
	s_mul_i32 s2, s34, s11
	s_mul_hi_u32 s5, s34, s10
	s_add_i32 s5, s5, s2
	s_mul_i32 s2, s35, s10
	s_add_i32 s5, s5, s2
	s_mul_i32 s2, s34, s10
	s_mul_i32 s6, s2, s9
	s_mul_hi_u32 s7, s2, s8
	s_add_i32 s6, s7, s6
	s_mul_i32 s7, s5, s8
	s_add_i32 s7, s6, s7
	s_mul_i32 s6, s2, s8
	v_cmp_gt_i64_e32 vcc, s[6:7], v[0:1]
	s_and_saveexec_b64 s[6:7], vcc
	s_cbranch_execz .LBB72_19
; %bb.1:
	v_or_b32_e32 v3, s35, v1
	v_cmp_ne_u64_e32 vcc, 0, v[2:3]
	v_ashrrev_i32_e32 v2, 31, v1
                                        ; implicit-def: $vgpr6_vgpr7
	s_and_saveexec_b64 s[6:7], vcc
	s_xor_b64 s[8:9], exec, s[6:7]
	s_cbranch_execz .LBB72_3
; %bb.2:
	s_ashr_i32 s12, s35, 31
	s_add_u32 s6, s34, s12
	s_mov_b32 s13, s12
	s_addc_u32 s7, s35, s12
	s_xor_b64 s[14:15], s[6:7], s[12:13]
	v_cvt_f32_u32_e32 v3, s14
	v_cvt_f32_u32_e32 v4, s15
	s_sub_u32 s13, 0, s14
	s_subb_u32 s16, 0, s15
	v_mov_b32_e32 v7, 0
	v_fmamk_f32 v3, v4, 0x4f800000, v3
	v_rcp_f32_e32 v3, v3
	s_nop 0
	v_mul_f32_e32 v3, 0x5f7ffffc, v3
	v_mul_f32_e32 v4, 0x2f800000, v3
	v_trunc_f32_e32 v4, v4
	v_fmamk_f32 v3, v4, 0xcf800000, v3
	v_cvt_u32_f32_e32 v4, v4
	v_cvt_u32_f32_e32 v3, v3
	v_readfirstlane_b32 s17, v4
	v_readfirstlane_b32 s6, v3
	s_mul_i32 s7, s13, s17
	s_mul_hi_u32 s19, s13, s6
	s_mul_i32 s18, s16, s6
	s_add_i32 s7, s19, s7
	s_add_i32 s7, s7, s18
	s_mul_i32 s20, s13, s6
	s_mul_i32 s19, s6, s7
	s_mul_hi_u32 s21, s6, s20
	s_mul_hi_u32 s18, s6, s7
	s_add_u32 s19, s21, s19
	s_addc_u32 s18, 0, s18
	s_mul_hi_u32 s22, s17, s20
	s_mul_i32 s20, s17, s20
	s_add_u32 s19, s19, s20
	s_mul_hi_u32 s21, s17, s7
	s_addc_u32 s18, s18, s22
	s_addc_u32 s19, s21, 0
	s_mul_i32 s7, s17, s7
	s_add_u32 s7, s18, s7
	s_addc_u32 s18, 0, s19
	s_add_u32 s19, s6, s7
	s_cselect_b64 s[6:7], -1, 0
	s_cmp_lg_u64 s[6:7], 0
	s_addc_u32 s17, s17, s18
	s_mul_i32 s6, s13, s17
	s_mul_hi_u32 s7, s13, s19
	s_add_i32 s6, s7, s6
	s_mul_i32 s16, s16, s19
	s_add_i32 s6, s6, s16
	s_mul_i32 s13, s13, s19
	s_mul_hi_u32 s16, s17, s13
	s_mul_i32 s18, s17, s13
	s_mul_i32 s21, s19, s6
	s_mul_hi_u32 s13, s19, s13
	s_mul_hi_u32 s20, s19, s6
	s_add_u32 s13, s13, s21
	s_addc_u32 s20, 0, s20
	s_add_u32 s13, s13, s18
	s_mul_hi_u32 s7, s17, s6
	s_addc_u32 s13, s20, s16
	s_addc_u32 s7, s7, 0
	s_mul_i32 s6, s17, s6
	s_add_u32 s6, s13, s6
	s_addc_u32 s13, 0, s7
	s_add_u32 s16, s19, s6
	s_cselect_b64 s[6:7], -1, 0
	v_mov_b32_e32 v3, v2
	s_cmp_lg_u64 s[6:7], 0
	v_lshl_add_u64 v[4:5], v[0:1], 0, v[2:3]
	s_addc_u32 s13, s17, s13
	v_xor_b32_e32 v12, v4, v2
	v_xor_b32_e32 v3, v5, v2
	v_mad_u64_u32 v[4:5], s[6:7], v12, s13, 0
	v_mul_hi_u32 v6, v12, s16
	v_lshl_add_u64 v[4:5], v[6:7], 0, v[4:5]
	v_mad_u64_u32 v[10:11], s[6:7], v3, s16, 0
	v_add_co_u32_e32 v4, vcc, v4, v10
	v_mad_u64_u32 v[8:9], s[6:7], v3, s13, 0
	s_nop 0
	v_addc_co_u32_e32 v6, vcc, v5, v11, vcc
	s_nop 1
	v_addc_co_u32_e32 v9, vcc, 0, v9, vcc
	v_lshl_add_u64 v[4:5], v[6:7], 0, v[8:9]
	v_mul_lo_u32 v8, s15, v4
	v_mul_lo_u32 v9, s14, v5
	v_mad_u64_u32 v[6:7], s[6:7], s14, v4, 0
	v_add3_u32 v10, v7, v9, v8
	v_sub_u32_e32 v7, v3, v10
	v_mov_b32_e32 v8, s15
	v_sub_co_u32_e32 v11, vcc, v12, v6
	s_nop 1
	v_subb_co_u32_e64 v6, s[6:7], v7, v8, vcc
	v_subrev_co_u32_e64 v7, s[6:7], s14, v11
	v_subb_co_u32_e32 v3, vcc, v3, v10, vcc
	s_nop 0
	v_subbrev_co_u32_e64 v6, s[6:7], 0, v6, s[6:7]
	v_cmp_le_u32_e64 s[6:7], s15, v6
	v_cmp_le_u32_e32 vcc, s15, v3
	s_nop 0
	v_cndmask_b32_e64 v8, 0, -1, s[6:7]
	v_cmp_le_u32_e64 s[6:7], s14, v7
	s_nop 1
	v_cndmask_b32_e64 v7, 0, -1, s[6:7]
	v_cmp_eq_u32_e64 s[6:7], s15, v6
	s_nop 1
	v_cndmask_b32_e64 v12, v8, v7, s[6:7]
	v_lshl_add_u64 v[6:7], v[4:5], 0, 2
	v_lshl_add_u64 v[8:9], v[4:5], 0, 1
	v_cmp_ne_u32_e64 s[6:7], 0, v12
	s_nop 1
	v_cndmask_b32_e64 v7, v9, v7, s[6:7]
	v_cndmask_b32_e64 v9, 0, -1, vcc
	v_cmp_le_u32_e32 vcc, s14, v11
	s_nop 1
	v_cndmask_b32_e64 v10, 0, -1, vcc
	v_cmp_eq_u32_e32 vcc, s15, v3
	s_nop 1
	v_cndmask_b32_e32 v3, v9, v10, vcc
	v_cmp_ne_u32_e32 vcc, 0, v3
	s_nop 1
	v_cndmask_b32_e32 v3, v5, v7, vcc
	v_cndmask_b32_e64 v5, v8, v6, s[6:7]
	v_cndmask_b32_e32 v4, v4, v5, vcc
	v_xor_b32_e32 v5, s12, v2
	v_xor_b32_e32 v4, v4, v5
	;; [unrolled: 1-line block ×3, first 2 shown]
	v_sub_co_u32_e32 v6, vcc, v4, v5
	s_nop 1
	v_subb_co_u32_e32 v7, vcc, v3, v5, vcc
.LBB72_3:
	s_andn2_saveexec_b64 s[6:7], s[8:9]
	s_cbranch_execz .LBB72_5
; %bb.4:
	v_cvt_f32_u32_e32 v3, s34
	s_sub_i32 s8, 0, s34
	v_mov_b32_e32 v7, 0
	v_rcp_iflag_f32_e32 v3, v3
	s_nop 0
	v_mul_f32_e32 v3, 0x4f7ffffe, v3
	v_cvt_u32_f32_e32 v3, v3
	v_mul_lo_u32 v4, s8, v3
	v_mul_hi_u32 v4, v3, v4
	v_add_u32_e32 v3, v3, v4
	v_mul_hi_u32 v3, v0, v3
	v_mul_lo_u32 v4, v3, s34
	v_sub_u32_e32 v4, v0, v4
	v_add_u32_e32 v5, 1, v3
	v_subrev_u32_e32 v6, s34, v4
	v_cmp_le_u32_e32 vcc, s34, v4
	s_nop 1
	v_cndmask_b32_e32 v4, v4, v6, vcc
	v_cndmask_b32_e32 v3, v3, v5, vcc
	v_add_u32_e32 v5, 1, v3
	v_cmp_le_u32_e32 vcc, s34, v4
	s_nop 1
	v_cndmask_b32_e32 v6, v3, v5, vcc
.LBB72_5:
	s_or_b64 exec, exec, s[6:7]
	v_or_b32_e32 v9, s11, v7
	v_mov_b32_e32 v8, 0
	v_cmp_ne_u64_e32 vcc, 0, v[8:9]
                                        ; implicit-def: $vgpr4_vgpr5
	s_and_saveexec_b64 s[6:7], vcc
	s_xor_b64 s[12:13], exec, s[6:7]
	s_cbranch_execz .LBB72_7
; %bb.6:
	s_ashr_i32 s6, s11, 31
	s_add_u32 s8, s10, s6
	s_mov_b32 s7, s6
	s_addc_u32 s9, s11, s6
	s_xor_b64 s[14:15], s[8:9], s[6:7]
	v_cvt_f32_u32_e32 v3, s14
	v_cvt_f32_u32_e32 v4, s15
	s_sub_u32 s8, 0, s14
	s_subb_u32 s9, 0, s15
	v_ashrrev_i32_e32 v10, 31, v7
	v_fmamk_f32 v3, v4, 0x4f800000, v3
	v_rcp_f32_e32 v3, v3
	v_mov_b32_e32 v11, v10
	v_mov_b32_e32 v13, v8
	v_mul_f32_e32 v3, 0x5f7ffffc, v3
	v_mul_f32_e32 v4, 0x2f800000, v3
	v_trunc_f32_e32 v4, v4
	v_fmamk_f32 v3, v4, 0xcf800000, v3
	v_cvt_u32_f32_e32 v4, v4
	v_cvt_u32_f32_e32 v3, v3
	v_readfirstlane_b32 s11, v4
	v_readfirstlane_b32 s6, v3
	s_mul_i32 s7, s8, s11
	s_mul_hi_u32 s17, s8, s6
	s_mul_i32 s16, s9, s6
	s_add_i32 s7, s17, s7
	s_add_i32 s7, s7, s16
	s_mul_i32 s18, s8, s6
	s_mul_i32 s17, s6, s7
	s_mul_hi_u32 s19, s6, s18
	s_mul_hi_u32 s16, s6, s7
	s_add_u32 s17, s19, s17
	s_addc_u32 s16, 0, s16
	s_mul_hi_u32 s20, s11, s18
	s_mul_i32 s18, s11, s18
	s_add_u32 s17, s17, s18
	s_mul_hi_u32 s19, s11, s7
	s_addc_u32 s16, s16, s20
	s_addc_u32 s17, s19, 0
	s_mul_i32 s7, s11, s7
	s_add_u32 s7, s16, s7
	s_addc_u32 s16, 0, s17
	s_add_u32 s17, s6, s7
	s_cselect_b64 s[6:7], -1, 0
	s_cmp_lg_u64 s[6:7], 0
	s_addc_u32 s11, s11, s16
	s_mul_i32 s6, s8, s11
	s_mul_hi_u32 s7, s8, s17
	s_add_i32 s6, s7, s6
	s_mul_i32 s9, s9, s17
	s_add_i32 s6, s6, s9
	s_mul_i32 s8, s8, s17
	s_mul_hi_u32 s9, s11, s8
	s_mul_i32 s16, s11, s8
	s_mul_i32 s19, s17, s6
	s_mul_hi_u32 s8, s17, s8
	s_mul_hi_u32 s18, s17, s6
	s_add_u32 s8, s8, s19
	s_addc_u32 s18, 0, s18
	s_add_u32 s8, s8, s16
	s_mul_hi_u32 s7, s11, s6
	s_addc_u32 s8, s18, s9
	s_addc_u32 s7, s7, 0
	s_mul_i32 s6, s11, s6
	s_add_u32 s6, s8, s6
	s_addc_u32 s8, 0, s7
	s_add_u32 s9, s17, s6
	s_cselect_b64 s[6:7], -1, 0
	s_cmp_lg_u64 s[6:7], 0
	v_lshl_add_u64 v[4:5], v[6:7], 0, v[10:11]
	s_addc_u32 s8, s11, s8
	v_xor_b32_e32 v9, v4, v10
	v_xor_b32_e32 v3, v5, v10
	v_mad_u64_u32 v[4:5], s[6:7], v9, s8, 0
	v_mul_hi_u32 v12, v9, s9
	v_lshl_add_u64 v[4:5], v[12:13], 0, v[4:5]
	v_mad_u64_u32 v[14:15], s[6:7], v3, s9, 0
	v_add_co_u32_e32 v4, vcc, v4, v14
	v_mad_u64_u32 v[12:13], s[6:7], v3, s8, 0
	s_nop 0
	v_addc_co_u32_e32 v4, vcc, v5, v15, vcc
	v_mov_b32_e32 v5, v8
	s_nop 0
	v_addc_co_u32_e32 v13, vcc, 0, v13, vcc
	v_lshl_add_u64 v[4:5], v[4:5], 0, v[12:13]
	v_mul_lo_u32 v8, s15, v4
	v_mul_lo_u32 v11, s14, v5
	v_mad_u64_u32 v[4:5], s[6:7], s14, v4, 0
	v_add3_u32 v5, v5, v11, v8
	v_sub_u32_e32 v8, v3, v5
	v_mov_b32_e32 v11, s15
	v_sub_co_u32_e32 v4, vcc, v9, v4
	s_nop 1
	v_subb_co_u32_e64 v8, s[6:7], v8, v11, vcc
	v_subrev_co_u32_e64 v9, s[6:7], s14, v4
	v_subb_co_u32_e32 v3, vcc, v3, v5, vcc
	s_nop 0
	v_subbrev_co_u32_e64 v12, s[8:9], 0, v8, s[6:7]
	v_cmp_le_u32_e64 s[8:9], s15, v12
	v_subb_co_u32_e64 v8, s[6:7], v8, v11, s[6:7]
	s_nop 0
	v_cndmask_b32_e64 v13, 0, -1, s[8:9]
	v_cmp_le_u32_e64 s[8:9], s14, v9
	v_subrev_co_u32_e64 v11, s[6:7], s14, v9
	s_nop 0
	v_cndmask_b32_e64 v14, 0, -1, s[8:9]
	v_cmp_eq_u32_e64 s[8:9], s15, v12
	v_subbrev_co_u32_e64 v8, s[6:7], 0, v8, s[6:7]
	s_nop 0
	v_cndmask_b32_e64 v13, v13, v14, s[8:9]
	v_cmp_le_u32_e32 vcc, s15, v3
	v_cmp_ne_u32_e64 s[6:7], 0, v13
	s_nop 0
	v_cndmask_b32_e64 v5, 0, -1, vcc
	v_cmp_le_u32_e32 vcc, s14, v4
	v_cndmask_b32_e64 v8, v12, v8, s[6:7]
	s_nop 0
	v_cndmask_b32_e64 v12, 0, -1, vcc
	v_cmp_eq_u32_e32 vcc, s15, v3
	s_nop 1
	v_cndmask_b32_e32 v5, v5, v12, vcc
	v_cmp_ne_u32_e32 vcc, 0, v5
	v_cndmask_b32_e64 v5, v9, v11, s[6:7]
	s_nop 0
	v_cndmask_b32_e32 v4, v4, v5, vcc
	v_cndmask_b32_e32 v3, v3, v8, vcc
	v_xor_b32_e32 v4, v4, v10
	v_xor_b32_e32 v3, v3, v10
	v_sub_co_u32_e32 v4, vcc, v4, v10
	s_nop 1
	v_subb_co_u32_e32 v5, vcc, v3, v10, vcc
.LBB72_7:
	s_or_saveexec_b64 s[6:7], s[12:13]
	s_load_dwordx2 s[44:45], s[0:1], 0xa8
	s_load_dwordx8 s[24:31], s[0:1], 0x88
	s_xor_b64 exec, exec, s[6:7]
	s_cbranch_execz .LBB72_9
; %bb.8:
	v_cvt_f32_u32_e32 v3, s10
	s_sub_i32 s8, 0, s10
	v_mov_b32_e32 v5, 0
	v_rcp_iflag_f32_e32 v3, v3
	s_nop 0
	v_mul_f32_e32 v3, 0x4f7ffffe, v3
	v_cvt_u32_f32_e32 v3, v3
	v_mul_lo_u32 v4, s8, v3
	v_mul_hi_u32 v4, v3, v4
	v_add_u32_e32 v3, v3, v4
	v_mul_hi_u32 v3, v6, v3
	v_mul_lo_u32 v3, v3, s10
	v_sub_u32_e32 v3, v6, v3
	v_subrev_u32_e32 v4, s10, v3
	v_cmp_le_u32_e32 vcc, s10, v3
	s_nop 1
	v_cndmask_b32_e32 v3, v3, v4, vcc
	v_subrev_u32_e32 v4, s10, v3
	v_cmp_le_u32_e32 vcc, s10, v3
	s_nop 1
	v_cndmask_b32_e32 v4, v3, v4, vcc
.LBB72_9:
	s_or_b64 exec, exec, s[6:7]
	s_load_dwordx2 s[48:49], s[0:1], 0x58
	s_load_dwordx2 s[46:47], s[0:1], 0x0
	v_or_b32_e32 v11, s5, v1
	v_mov_b32_e32 v10, 0
	v_cmp_ne_u64_e32 vcc, 0, v[10:11]
                                        ; implicit-def: $vgpr8_vgpr9
	s_and_saveexec_b64 s[6:7], vcc
	s_xor_b64 s[8:9], exec, s[6:7]
	s_cbranch_execz .LBB72_11
; %bb.10:
	s_ashr_i32 s10, s5, 31
	s_add_u32 s6, s2, s10
	s_mov_b32 s11, s10
	s_addc_u32 s7, s5, s10
	s_xor_b64 s[12:13], s[6:7], s[10:11]
	v_cvt_f32_u32_e32 v3, s12
	v_cvt_f32_u32_e32 v8, s13
	s_sub_u32 s5, 0, s12
	s_subb_u32 s11, 0, s13
	v_mov_b32_e32 v13, v10
	v_fmamk_f32 v3, v8, 0x4f800000, v3
	v_rcp_f32_e32 v3, v3
	s_nop 0
	v_mul_f32_e32 v3, 0x5f7ffffc, v3
	v_mul_f32_e32 v8, 0x2f800000, v3
	v_trunc_f32_e32 v8, v8
	v_fmamk_f32 v3, v8, 0xcf800000, v3
	v_cvt_u32_f32_e32 v8, v8
	v_cvt_u32_f32_e32 v3, v3
	v_readfirstlane_b32 s14, v8
	v_readfirstlane_b32 s6, v3
	s_mul_i32 s7, s5, s14
	s_mul_hi_u32 s16, s5, s6
	s_mul_i32 s15, s11, s6
	s_add_i32 s7, s16, s7
	s_add_i32 s7, s7, s15
	s_mul_i32 s17, s5, s6
	s_mul_i32 s16, s6, s7
	s_mul_hi_u32 s18, s6, s17
	s_mul_hi_u32 s15, s6, s7
	s_add_u32 s16, s18, s16
	s_addc_u32 s15, 0, s15
	s_mul_hi_u32 s19, s14, s17
	s_mul_i32 s17, s14, s17
	s_add_u32 s16, s16, s17
	s_mul_hi_u32 s18, s14, s7
	s_addc_u32 s15, s15, s19
	s_addc_u32 s16, s18, 0
	s_mul_i32 s7, s14, s7
	s_add_u32 s7, s15, s7
	s_addc_u32 s15, 0, s16
	s_add_u32 s16, s6, s7
	s_cselect_b64 s[6:7], -1, 0
	s_cmp_lg_u64 s[6:7], 0
	s_addc_u32 s14, s14, s15
	s_mul_i32 s6, s5, s14
	s_mul_hi_u32 s7, s5, s16
	s_add_i32 s6, s7, s6
	s_mul_i32 s11, s11, s16
	s_add_i32 s6, s6, s11
	s_mul_i32 s5, s5, s16
	s_mul_hi_u32 s11, s14, s5
	s_mul_i32 s15, s14, s5
	s_mul_i32 s18, s16, s6
	s_mul_hi_u32 s5, s16, s5
	s_mul_hi_u32 s17, s16, s6
	s_add_u32 s5, s5, s18
	s_addc_u32 s17, 0, s17
	s_add_u32 s5, s5, s15
	s_mul_hi_u32 s7, s14, s6
	s_addc_u32 s5, s17, s11
	s_addc_u32 s7, s7, 0
	s_mul_i32 s6, s14, s6
	s_add_u32 s5, s5, s6
	s_addc_u32 s11, 0, s7
	s_add_u32 s5, s16, s5
	s_cselect_b64 s[6:7], -1, 0
	v_mov_b32_e32 v3, v2
	s_cmp_lg_u64 s[6:7], 0
	v_lshl_add_u64 v[8:9], v[0:1], 0, v[2:3]
	s_addc_u32 s11, s14, s11
	v_xor_b32_e32 v16, v8, v2
	v_xor_b32_e32 v3, v9, v2
	v_mad_u64_u32 v[8:9], s[6:7], v16, s11, 0
	v_mul_hi_u32 v12, v16, s5
	v_lshl_add_u64 v[8:9], v[12:13], 0, v[8:9]
	v_mad_u64_u32 v[14:15], s[6:7], v3, s5, 0
	v_add_co_u32_e32 v8, vcc, v8, v14
	v_mad_u64_u32 v[12:13], s[6:7], v3, s11, 0
	s_nop 0
	v_addc_co_u32_e32 v8, vcc, v9, v15, vcc
	v_mov_b32_e32 v9, v10
	s_nop 0
	v_addc_co_u32_e32 v13, vcc, 0, v13, vcc
	v_lshl_add_u64 v[8:9], v[8:9], 0, v[12:13]
	v_mul_lo_u32 v12, s13, v8
	v_mul_lo_u32 v13, s12, v9
	v_mad_u64_u32 v[10:11], s[6:7], s12, v8, 0
	v_add3_u32 v14, v11, v13, v12
	v_sub_u32_e32 v11, v3, v14
	v_mov_b32_e32 v12, s13
	v_sub_co_u32_e32 v15, vcc, v16, v10
	v_xor_b32_e32 v2, s10, v2
	s_nop 0
	v_subb_co_u32_e64 v10, s[6:7], v11, v12, vcc
	v_subrev_co_u32_e64 v11, s[6:7], s12, v15
	v_subb_co_u32_e32 v3, vcc, v3, v14, vcc
	s_nop 0
	v_subbrev_co_u32_e64 v10, s[6:7], 0, v10, s[6:7]
	v_cmp_le_u32_e64 s[6:7], s13, v10
	v_cmp_le_u32_e32 vcc, s13, v3
	s_nop 0
	v_cndmask_b32_e64 v12, 0, -1, s[6:7]
	v_cmp_le_u32_e64 s[6:7], s12, v11
	s_nop 1
	v_cndmask_b32_e64 v11, 0, -1, s[6:7]
	v_cmp_eq_u32_e64 s[6:7], s13, v10
	s_nop 1
	v_cndmask_b32_e64 v16, v12, v11, s[6:7]
	v_lshl_add_u64 v[10:11], v[8:9], 0, 2
	v_lshl_add_u64 v[12:13], v[8:9], 0, 1
	v_cmp_ne_u32_e64 s[6:7], 0, v16
	s_nop 1
	v_cndmask_b32_e64 v11, v13, v11, s[6:7]
	v_cndmask_b32_e64 v13, 0, -1, vcc
	v_cmp_le_u32_e32 vcc, s12, v15
	s_nop 1
	v_cndmask_b32_e64 v14, 0, -1, vcc
	v_cmp_eq_u32_e32 vcc, s13, v3
	s_nop 1
	v_cndmask_b32_e32 v3, v13, v14, vcc
	v_cmp_ne_u32_e32 vcc, 0, v3
	s_nop 1
	v_cndmask_b32_e32 v3, v9, v11, vcc
	v_cndmask_b32_e64 v9, v12, v10, s[6:7]
	v_cndmask_b32_e32 v8, v8, v9, vcc
	v_xor_b32_e32 v8, v8, v2
	v_xor_b32_e32 v3, v3, v2
	v_sub_co_u32_e32 v8, vcc, v8, v2
	s_nop 1
	v_subb_co_u32_e32 v9, vcc, v3, v2, vcc
.LBB72_11:
	s_or_saveexec_b64 s[6:7], s[8:9]
	s_load_dwordx16 s[8:23], s[0:1], 0x18
	s_xor_b64 exec, exec, s[6:7]
	s_cbranch_execz .LBB72_13
; %bb.12:
	v_cvt_f32_u32_e32 v2, s2
	s_sub_i32 s5, 0, s2
	v_rcp_iflag_f32_e32 v2, v2
	s_nop 0
	v_mul_f32_e32 v2, 0x4f7ffffe, v2
	v_cvt_u32_f32_e32 v2, v2
	v_mul_lo_u32 v3, s5, v2
	v_mul_hi_u32 v3, v2, v3
	v_add_u32_e32 v2, v2, v3
	v_mul_hi_u32 v2, v0, v2
	v_mul_lo_u32 v3, v2, s2
	v_sub_u32_e32 v3, v0, v3
	v_add_u32_e32 v8, 1, v2
	v_subrev_u32_e32 v9, s2, v3
	v_cmp_le_u32_e32 vcc, s2, v3
	s_nop 1
	v_cndmask_b32_e32 v3, v3, v9, vcc
	v_cndmask_b32_e32 v2, v2, v8, vcc
	v_add_u32_e32 v8, 1, v2
	v_cmp_le_u32_e32 vcc, s2, v3
	v_mov_b32_e32 v9, 0
	s_nop 0
	v_cndmask_b32_e32 v8, v2, v8, vcc
.LBB72_13:
	s_or_b64 exec, exec, s[6:7]
	s_load_dwordx8 s[36:43], s[0:1], 0xb0
	v_mad_u64_u32 v[2:3], s[6:7], v6, s34, 0
	v_mul_lo_u32 v7, v7, s34
	v_mul_lo_u32 v10, v6, s35
	s_waitcnt lgkmcnt(0)
	s_sub_u32 s6, 0, s36
	s_subb_u32 s7, 0, s37
	s_sub_u32 s34, 0, s38
	s_subb_u32 s35, 0, s39
	s_sub_u32 s50, 0, s40
	s_subb_u32 s51, 0, s41
	v_cmp_gt_i64_e64 s[52:53], s[6:7], 0
	s_and_b64 s[52:53], s[52:53], exec
	s_cselect_b32 s2, s7, 0
	s_cselect_b32 s5, s6, 0
	v_cmp_gt_i64_e64 s[6:7], s[36:37], 0
	s_and_b64 s[6:7], s[6:7], exec
	v_cmp_gt_i64_e64 s[6:7], s[34:35], 0
	s_cselect_b32 s53, s37, 0
	s_cselect_b32 s52, s36, 0
	s_and_b64 s[6:7], s[6:7], exec
	v_add3_u32 v3, v3, v10, v7
	v_sub_co_u32_e32 v0, vcc, v0, v2
	v_cmp_gt_i64_e64 s[6:7], s[38:39], 0
	s_nop 0
	v_subb_co_u32_e32 v1, vcc, v1, v3, vcc
	s_cselect_b32 s33, s35, 0
	s_cselect_b32 s54, s34, 0
	s_and_b64 s[6:7], s[6:7], exec
	v_cmp_gt_i64_e64 s[6:7], s[50:51], 0
	v_mov_b32_e32 v2, s37
	v_subrev_co_u32_e32 v3, vcc, s36, v0
	s_cselect_b32 s35, s39, 0
	s_cselect_b32 s34, s38, 0
	s_and_b64 s[6:7], s[6:7], exec
	v_subb_co_u32_e32 v2, vcc, v1, v2, vcc
	v_cmp_gt_i64_e64 s[6:7], s[40:41], 0
	v_ashrrev_i32_e32 v6, 31, v2
	s_cselect_b32 s55, s51, 0
	s_cselect_b32 s56, s50, 0
	s_and_b64 s[6:7], s[6:7], exec
	v_xor_b32_e32 v7, v2, v6
	v_xor_b32_e32 v2, v3, v6
	s_cselect_b32 s7, s41, 0
	s_cselect_b32 s6, s40, 0
	v_sub_co_u32_e32 v2, vcc, v2, v6
	s_add_u32 s50, s36, s12
	s_nop 0
	v_subb_co_u32_e32 v3, vcc, v7, v6, vcc
	s_addc_u32 s51, s37, s13
	v_mov_b32_e32 v7, s51
	v_subrev_co_u32_e32 v6, vcc, s50, v0
	s_lshl_b64 s[36:37], s[36:37], 1
	s_nop 0
	v_subb_co_u32_e32 v7, vcc, v1, v7, vcc
	s_not_b64 s[50:51], s[52:53]
	v_lshl_add_u64 v[6:7], v[6:7], 0, 1
	s_add_u32 s36, s36, s50
	v_ashrrev_i32_e32 v10, 31, v7
	s_addc_u32 s37, s37, s51
	v_xor_b32_e32 v6, v6, v10
	s_add_u32 s5, s36, s5
	v_xor_b32_e32 v7, v7, v10
	v_sub_co_u32_e32 v6, vcc, v6, v10
	s_addc_u32 s2, s37, s2
	s_nop 0
	v_subb_co_u32_e32 v7, vcc, v7, v10, vcc
	s_add_u32 s5, s5, s12
	s_addc_u32 s2, s2, s13
	v_lshl_add_u64 v[6:7], v[0:1], 0, v[6:7]
	v_mov_b32_e32 v10, s2
	v_sub_co_u32_e32 v6, vcc, s5, v6
	s_add_u32 s2, s38, s10
	s_nop 0
	v_subb_co_u32_e32 v7, vcc, v10, v7, vcc
	v_lshl_add_u64 v[2:3], v[6:7], 0, v[2:3]
	v_mov_b32_e32 v6, s39
	v_subrev_co_u32_e32 v7, vcc, s38, v4
	s_addc_u32 s5, s39, s11
	s_nop 0
	v_subb_co_u32_e32 v6, vcc, v5, v6, vcc
	v_ashrrev_i32_e32 v10, 31, v6
	v_xor_b32_e32 v11, v6, v10
	v_xor_b32_e32 v6, v7, v10
	v_sub_co_u32_e32 v6, vcc, v6, v10
	s_lshl_b64 s[12:13], s[38:39], 1
	s_nop 0
	v_subb_co_u32_e32 v7, vcc, v11, v10, vcc
	v_mov_b32_e32 v11, s5
	v_subrev_co_u32_e32 v10, vcc, s2, v4
	s_not_b64 s[34:35], s[34:35]
	s_nop 0
	v_subb_co_u32_e32 v11, vcc, v5, v11, vcc
	v_lshl_add_u64 v[10:11], v[10:11], 0, 1
	s_add_u32 s2, s12, s34
	v_ashrrev_i32_e32 v12, 31, v11
	s_addc_u32 s5, s13, s35
	v_xor_b32_e32 v10, v10, v12
	s_add_u32 s2, s2, s54
	v_xor_b32_e32 v11, v11, v12
	v_sub_co_u32_e32 v10, vcc, v10, v12
	s_addc_u32 s5, s5, s33
	s_nop 0
	v_subb_co_u32_e32 v11, vcc, v11, v12, vcc
	s_add_u32 s2, s2, s10
	s_addc_u32 s5, s5, s11
	v_lshl_add_u64 v[10:11], v[4:5], 0, v[10:11]
	v_mov_b32_e32 v12, s5
	v_sub_co_u32_e32 v10, vcc, s2, v10
	s_add_u32 s2, s40, s8
	s_nop 0
	v_subb_co_u32_e32 v11, vcc, v12, v11, vcc
	v_lshl_add_u64 v[6:7], v[10:11], 0, v[6:7]
	v_mov_b32_e32 v10, s41
	v_subrev_co_u32_e32 v11, vcc, s40, v8
	s_addc_u32 s5, s41, s9
	s_nop 0
	v_subb_co_u32_e32 v10, vcc, v9, v10, vcc
	v_ashrrev_i32_e32 v12, 31, v10
	v_xor_b32_e32 v13, v10, v12
	v_xor_b32_e32 v10, v11, v12
	v_sub_co_u32_e32 v10, vcc, v10, v12
	s_lshl_b64 s[10:11], s[40:41], 1
	s_nop 0
	v_subb_co_u32_e32 v11, vcc, v13, v12, vcc
	s_not_b64 s[6:7], s[6:7]
	v_mov_b32_e32 v13, s5
	v_subrev_co_u32_e32 v12, vcc, s2, v8
	s_add_u32 s2, s10, s6
	s_nop 0
	v_subb_co_u32_e32 v13, vcc, v9, v13, vcc
	s_addc_u32 s5, s11, s7
	v_lshl_add_u64 v[12:13], v[12:13], 0, 1
	s_add_u32 s2, s2, s56
	s_load_dwordx2 s[0:1], s[0:1], 0xd0
	v_ashrrev_i32_e32 v14, 31, v13
	s_addc_u32 s5, s5, s55
	v_xor_b32_e32 v12, v12, v14
	s_add_u32 s2, s2, s8
	v_xor_b32_e32 v13, v13, v14
	v_sub_co_u32_e32 v12, vcc, v12, v14
	s_addc_u32 s5, s5, s9
	s_nop 0
	v_subb_co_u32_e32 v13, vcc, v13, v14, vcc
	v_mov_b32_e32 v14, s5
	s_add_u32 s5, s42, s3
	s_addc_u32 s6, s43, 0
	s_waitcnt lgkmcnt(0)
	s_add_u32 s4, s0, s4
	s_addc_u32 s7, s1, 0
	s_mul_i32 s0, s24, s7
	s_mul_hi_u32 s1, s24, s4
	s_add_i32 s0, s1, s0
	s_mul_i32 s1, s25, s4
	s_add_i32 s1, s0, s1
	s_mul_i32 s0, s24, s4
	v_lshl_add_u64 v[12:13], v[8:9], 0, v[12:13]
	s_lshl_b64 s[0:1], s[0:1], 1
	v_sub_co_u32_e32 v12, vcc, s2, v12
	s_add_u32 s2, s48, s0
	s_addc_u32 s3, s49, s1
	s_mul_i32 s0, s26, s6
	s_mul_hi_u32 s1, s26, s5
	s_add_i32 s0, s1, s0
	s_mul_i32 s1, s27, s5
	s_add_i32 s1, s0, s1
	s_mul_i32 s0, s26, s5
	s_lshl_b64 s[0:1], s[0:1], 1
	v_subb_co_u32_e32 v13, vcc, v14, v13, vcc
	s_add_u32 s0, s2, s0
	v_lshl_add_u64 v[10:11], v[12:13], 0, v[10:11]
	s_addc_u32 s1, s3, s1
	v_mul_lo_u32 v12, v9, s28
	v_mul_lo_u32 v13, v8, s29
	v_mad_u64_u32 v[8:9], s[2:3], v8, s28, 0
	v_add3_u32 v9, v9, v13, v12
	v_lshl_add_u64 v[8:9], v[8:9], 1, s[0:1]
	v_mul_lo_u32 v12, v5, s30
	v_mul_lo_u32 v13, v4, s31
	v_mad_u64_u32 v[4:5], s[0:1], v4, s30, 0
	v_add3_u32 v5, v5, v13, v12
	v_lshl_add_u64 v[4:5], v[4:5], 1, v[8:9]
	v_mul_lo_u32 v8, v1, s44
	v_mul_lo_u32 v9, v0, s45
	v_mad_u64_u32 v[0:1], s[0:1], v0, s44, 0
	s_mul_i32 s0, s14, s7
	s_mul_hi_u32 s1, s14, s4
	s_add_i32 s0, s1, s0
	s_mul_i32 s1, s15, s4
	s_add_i32 s1, s0, s1
	s_mul_i32 s0, s14, s4
	s_lshl_b64 s[0:1], s[0:1], 1
	s_add_u32 s2, s46, s0
	s_addc_u32 s3, s47, s1
	s_mul_i32 s0, s16, s6
	s_mul_hi_u32 s1, s16, s5
	s_add_i32 s0, s1, s0
	s_mul_i32 s1, s17, s5
	s_add_i32 s1, s0, s1
	s_mul_i32 s0, s16, s5
	v_add3_u32 v1, v1, v9, v8
	s_lshl_b64 s[0:1], s[0:1], 1
	v_lshl_add_u64 v[0:1], v[0:1], 1, v[4:5]
	s_add_u32 s0, s2, s0
	global_load_ushort v4, v[0:1], off
	s_addc_u32 s1, s3, s1
	v_mul_lo_u32 v5, v11, s18
	v_mul_lo_u32 v8, v10, s19
	v_mad_u64_u32 v[0:1], s[2:3], v10, s18, 0
	v_add3_u32 v1, v1, v8, v5
	v_lshl_add_u64 v[0:1], v[0:1], 1, s[0:1]
	v_mul_lo_u32 v5, v7, s20
	v_mul_lo_u32 v8, v6, s21
	v_mad_u64_u32 v[6:7], s[0:1], v6, s20, 0
	v_add3_u32 v7, v7, v8, v5
	v_lshl_add_u64 v[0:1], v[6:7], 1, v[0:1]
	;; [unrolled: 5-line block ×3, first 2 shown]
	v_and_b32_e32 v6, 2, v0
	v_sub_co_u32_e32 v2, vcc, 0, v6
	v_mov_b32_e32 v7, 0
	s_nop 0
	v_subb_co_u32_e64 v3, s[0:1], 0, 0, vcc
	v_lshl_add_u64 v[0:1], v[0:1], 0, v[2:3]
	global_load_dword v3, v[0:1], off
	s_mov_b64 s[4:5], 0
	v_cmp_eq_u64_e32 vcc, 0, v[6:7]
	v_cmp_ne_u32_e64 s[0:1], 0, v6
	s_mov_b32 s6, 0xffff0000
	s_branch .LBB72_15
.LBB72_14:                              ;   in Loop: Header=BB72_15 Depth=1
	s_or_b64 exec, exec, s[2:3]
	global_atomic_cmpswap v2, v[0:1], v[2:3], off sc0
	s_waitcnt vmcnt(0)
	v_cmp_eq_u32_e64 s[2:3], v3, v2
	s_or_b64 s[4:5], s[2:3], s[4:5]
	v_mov_b32_e32 v3, v2
	s_andn2_b64 exec, exec, s[4:5]
	s_cbranch_execz .LBB72_19
.LBB72_15:                              ; =>This Inner Loop Header: Depth=1
	s_waitcnt vmcnt(0)
	v_cndmask_b32_sdwa v2, v3, v3, vcc dst_sel:DWORD dst_unused:UNUSED_PAD src0_sel:WORD_1 src1_sel:DWORD
	v_add_f16_e32 v5, v4, v2
	s_and_saveexec_b64 s[2:3], s[0:1]
	s_xor_b64 s[2:3], exec, s[2:3]
; %bb.16:                               ;   in Loop: Header=BB72_15 Depth=1
	v_and_b32_e32 v2, 0xffff, v3
	v_lshl_or_b32 v2, v5, 16, v2
                                        ; implicit-def: $vgpr5
; %bb.17:                               ;   in Loop: Header=BB72_15 Depth=1
	s_andn2_saveexec_b64 s[2:3], s[2:3]
	s_cbranch_execz .LBB72_14
; %bb.18:                               ;   in Loop: Header=BB72_15 Depth=1
	v_and_or_b32 v2, v3, s6, v5
	s_branch .LBB72_14
.LBB72_19:
	s_endpgm
	.section	.rodata,"a",@progbits
	.p2align	6, 0x0
	.amdhsa_kernel _ZN2at6native12_GLOBAL__N_136reflection_pad3d_backward_out_kernelIN3c104HalfEEEvN5torch10headeronly6detail27GenericPackedTensorAccessorINS7_14TensorAccessorINS3_8ArrayRefIlEET_Lm4ENS6_16DefaultPtrTraitsElEENS_6detail16IndexBoundsCheckILm5ElEESC_Lm5ESD_lEENS8_INS9_ISB_KSC_Lm4ESD_lEESH_SJ_Lm5ESD_lEElllll
		.amdhsa_group_segment_fixed_size 0
		.amdhsa_private_segment_fixed_size 0
		.amdhsa_kernarg_size 472
		.amdhsa_user_sgpr_count 2
		.amdhsa_user_sgpr_dispatch_ptr 0
		.amdhsa_user_sgpr_queue_ptr 0
		.amdhsa_user_sgpr_kernarg_segment_ptr 1
		.amdhsa_user_sgpr_dispatch_id 0
		.amdhsa_user_sgpr_kernarg_preload_length 0
		.amdhsa_user_sgpr_kernarg_preload_offset 0
		.amdhsa_user_sgpr_private_segment_size 0
		.amdhsa_uses_dynamic_stack 0
		.amdhsa_enable_private_segment 0
		.amdhsa_system_sgpr_workgroup_id_x 1
		.amdhsa_system_sgpr_workgroup_id_y 1
		.amdhsa_system_sgpr_workgroup_id_z 1
		.amdhsa_system_sgpr_workgroup_info 0
		.amdhsa_system_vgpr_workitem_id 0
		.amdhsa_next_free_vgpr 17
		.amdhsa_next_free_sgpr 57
		.amdhsa_accum_offset 20
		.amdhsa_reserve_vcc 1
		.amdhsa_float_round_mode_32 0
		.amdhsa_float_round_mode_16_64 0
		.amdhsa_float_denorm_mode_32 3
		.amdhsa_float_denorm_mode_16_64 3
		.amdhsa_dx10_clamp 1
		.amdhsa_ieee_mode 1
		.amdhsa_fp16_overflow 0
		.amdhsa_tg_split 0
		.amdhsa_exception_fp_ieee_invalid_op 0
		.amdhsa_exception_fp_denorm_src 0
		.amdhsa_exception_fp_ieee_div_zero 0
		.amdhsa_exception_fp_ieee_overflow 0
		.amdhsa_exception_fp_ieee_underflow 0
		.amdhsa_exception_fp_ieee_inexact 0
		.amdhsa_exception_int_div_zero 0
	.end_amdhsa_kernel
	.section	.text._ZN2at6native12_GLOBAL__N_136reflection_pad3d_backward_out_kernelIN3c104HalfEEEvN5torch10headeronly6detail27GenericPackedTensorAccessorINS7_14TensorAccessorINS3_8ArrayRefIlEET_Lm4ENS6_16DefaultPtrTraitsElEENS_6detail16IndexBoundsCheckILm5ElEESC_Lm5ESD_lEENS8_INS9_ISB_KSC_Lm4ESD_lEESH_SJ_Lm5ESD_lEElllll,"axG",@progbits,_ZN2at6native12_GLOBAL__N_136reflection_pad3d_backward_out_kernelIN3c104HalfEEEvN5torch10headeronly6detail27GenericPackedTensorAccessorINS7_14TensorAccessorINS3_8ArrayRefIlEET_Lm4ENS6_16DefaultPtrTraitsElEENS_6detail16IndexBoundsCheckILm5ElEESC_Lm5ESD_lEENS8_INS9_ISB_KSC_Lm4ESD_lEESH_SJ_Lm5ESD_lEElllll,comdat
.Lfunc_end72:
	.size	_ZN2at6native12_GLOBAL__N_136reflection_pad3d_backward_out_kernelIN3c104HalfEEEvN5torch10headeronly6detail27GenericPackedTensorAccessorINS7_14TensorAccessorINS3_8ArrayRefIlEET_Lm4ENS6_16DefaultPtrTraitsElEENS_6detail16IndexBoundsCheckILm5ElEESC_Lm5ESD_lEENS8_INS9_ISB_KSC_Lm4ESD_lEESH_SJ_Lm5ESD_lEElllll, .Lfunc_end72-_ZN2at6native12_GLOBAL__N_136reflection_pad3d_backward_out_kernelIN3c104HalfEEEvN5torch10headeronly6detail27GenericPackedTensorAccessorINS7_14TensorAccessorINS3_8ArrayRefIlEET_Lm4ENS6_16DefaultPtrTraitsElEENS_6detail16IndexBoundsCheckILm5ElEESC_Lm5ESD_lEENS8_INS9_ISB_KSC_Lm4ESD_lEESH_SJ_Lm5ESD_lEElllll
                                        ; -- End function
	.set _ZN2at6native12_GLOBAL__N_136reflection_pad3d_backward_out_kernelIN3c104HalfEEEvN5torch10headeronly6detail27GenericPackedTensorAccessorINS7_14TensorAccessorINS3_8ArrayRefIlEET_Lm4ENS6_16DefaultPtrTraitsElEENS_6detail16IndexBoundsCheckILm5ElEESC_Lm5ESD_lEENS8_INS9_ISB_KSC_Lm4ESD_lEESH_SJ_Lm5ESD_lEElllll.num_vgpr, 17
	.set _ZN2at6native12_GLOBAL__N_136reflection_pad3d_backward_out_kernelIN3c104HalfEEEvN5torch10headeronly6detail27GenericPackedTensorAccessorINS7_14TensorAccessorINS3_8ArrayRefIlEET_Lm4ENS6_16DefaultPtrTraitsElEENS_6detail16IndexBoundsCheckILm5ElEESC_Lm5ESD_lEENS8_INS9_ISB_KSC_Lm4ESD_lEESH_SJ_Lm5ESD_lEElllll.num_agpr, 0
	.set _ZN2at6native12_GLOBAL__N_136reflection_pad3d_backward_out_kernelIN3c104HalfEEEvN5torch10headeronly6detail27GenericPackedTensorAccessorINS7_14TensorAccessorINS3_8ArrayRefIlEET_Lm4ENS6_16DefaultPtrTraitsElEENS_6detail16IndexBoundsCheckILm5ElEESC_Lm5ESD_lEENS8_INS9_ISB_KSC_Lm4ESD_lEESH_SJ_Lm5ESD_lEElllll.numbered_sgpr, 57
	.set _ZN2at6native12_GLOBAL__N_136reflection_pad3d_backward_out_kernelIN3c104HalfEEEvN5torch10headeronly6detail27GenericPackedTensorAccessorINS7_14TensorAccessorINS3_8ArrayRefIlEET_Lm4ENS6_16DefaultPtrTraitsElEENS_6detail16IndexBoundsCheckILm5ElEESC_Lm5ESD_lEENS8_INS9_ISB_KSC_Lm4ESD_lEESH_SJ_Lm5ESD_lEElllll.num_named_barrier, 0
	.set _ZN2at6native12_GLOBAL__N_136reflection_pad3d_backward_out_kernelIN3c104HalfEEEvN5torch10headeronly6detail27GenericPackedTensorAccessorINS7_14TensorAccessorINS3_8ArrayRefIlEET_Lm4ENS6_16DefaultPtrTraitsElEENS_6detail16IndexBoundsCheckILm5ElEESC_Lm5ESD_lEENS8_INS9_ISB_KSC_Lm4ESD_lEESH_SJ_Lm5ESD_lEElllll.private_seg_size, 0
	.set _ZN2at6native12_GLOBAL__N_136reflection_pad3d_backward_out_kernelIN3c104HalfEEEvN5torch10headeronly6detail27GenericPackedTensorAccessorINS7_14TensorAccessorINS3_8ArrayRefIlEET_Lm4ENS6_16DefaultPtrTraitsElEENS_6detail16IndexBoundsCheckILm5ElEESC_Lm5ESD_lEENS8_INS9_ISB_KSC_Lm4ESD_lEESH_SJ_Lm5ESD_lEElllll.uses_vcc, 1
	.set _ZN2at6native12_GLOBAL__N_136reflection_pad3d_backward_out_kernelIN3c104HalfEEEvN5torch10headeronly6detail27GenericPackedTensorAccessorINS7_14TensorAccessorINS3_8ArrayRefIlEET_Lm4ENS6_16DefaultPtrTraitsElEENS_6detail16IndexBoundsCheckILm5ElEESC_Lm5ESD_lEENS8_INS9_ISB_KSC_Lm4ESD_lEESH_SJ_Lm5ESD_lEElllll.uses_flat_scratch, 0
	.set _ZN2at6native12_GLOBAL__N_136reflection_pad3d_backward_out_kernelIN3c104HalfEEEvN5torch10headeronly6detail27GenericPackedTensorAccessorINS7_14TensorAccessorINS3_8ArrayRefIlEET_Lm4ENS6_16DefaultPtrTraitsElEENS_6detail16IndexBoundsCheckILm5ElEESC_Lm5ESD_lEENS8_INS9_ISB_KSC_Lm4ESD_lEESH_SJ_Lm5ESD_lEElllll.has_dyn_sized_stack, 0
	.set _ZN2at6native12_GLOBAL__N_136reflection_pad3d_backward_out_kernelIN3c104HalfEEEvN5torch10headeronly6detail27GenericPackedTensorAccessorINS7_14TensorAccessorINS3_8ArrayRefIlEET_Lm4ENS6_16DefaultPtrTraitsElEENS_6detail16IndexBoundsCheckILm5ElEESC_Lm5ESD_lEENS8_INS9_ISB_KSC_Lm4ESD_lEESH_SJ_Lm5ESD_lEElllll.has_recursion, 0
	.set _ZN2at6native12_GLOBAL__N_136reflection_pad3d_backward_out_kernelIN3c104HalfEEEvN5torch10headeronly6detail27GenericPackedTensorAccessorINS7_14TensorAccessorINS3_8ArrayRefIlEET_Lm4ENS6_16DefaultPtrTraitsElEENS_6detail16IndexBoundsCheckILm5ElEESC_Lm5ESD_lEENS8_INS9_ISB_KSC_Lm4ESD_lEESH_SJ_Lm5ESD_lEElllll.has_indirect_call, 0
	.section	.AMDGPU.csdata,"",@progbits
; Kernel info:
; codeLenInByte = 3808
; TotalNumSgprs: 63
; NumVgprs: 17
; NumAgprs: 0
; TotalNumVgprs: 17
; ScratchSize: 0
; MemoryBound: 0
; FloatMode: 240
; IeeeMode: 1
; LDSByteSize: 0 bytes/workgroup (compile time only)
; SGPRBlocks: 7
; VGPRBlocks: 2
; NumSGPRsForWavesPerEU: 63
; NumVGPRsForWavesPerEU: 17
; AccumOffset: 20
; Occupancy: 8
; WaveLimiterHint : 0
; COMPUTE_PGM_RSRC2:SCRATCH_EN: 0
; COMPUTE_PGM_RSRC2:USER_SGPR: 2
; COMPUTE_PGM_RSRC2:TRAP_HANDLER: 0
; COMPUTE_PGM_RSRC2:TGID_X_EN: 1
; COMPUTE_PGM_RSRC2:TGID_Y_EN: 1
; COMPUTE_PGM_RSRC2:TGID_Z_EN: 1
; COMPUTE_PGM_RSRC2:TIDIG_COMP_CNT: 0
; COMPUTE_PGM_RSRC3_GFX90A:ACCUM_OFFSET: 4
; COMPUTE_PGM_RSRC3_GFX90A:TG_SPLIT: 0
	.section	.text._ZN2at6native12_GLOBAL__N_136reflection_pad3d_backward_out_kernelIN3c108BFloat16EEEvN5torch10headeronly6detail27GenericPackedTensorAccessorINS7_14TensorAccessorINS3_8ArrayRefIlEET_Lm4ENS6_16DefaultPtrTraitsElEENS_6detail16IndexBoundsCheckILm5ElEESC_Lm5ESD_lEENS8_INS9_ISB_KSC_Lm4ESD_lEESH_SJ_Lm5ESD_lEElllll,"axG",@progbits,_ZN2at6native12_GLOBAL__N_136reflection_pad3d_backward_out_kernelIN3c108BFloat16EEEvN5torch10headeronly6detail27GenericPackedTensorAccessorINS7_14TensorAccessorINS3_8ArrayRefIlEET_Lm4ENS6_16DefaultPtrTraitsElEENS_6detail16IndexBoundsCheckILm5ElEESC_Lm5ESD_lEENS8_INS9_ISB_KSC_Lm4ESD_lEESH_SJ_Lm5ESD_lEElllll,comdat
	.globl	_ZN2at6native12_GLOBAL__N_136reflection_pad3d_backward_out_kernelIN3c108BFloat16EEEvN5torch10headeronly6detail27GenericPackedTensorAccessorINS7_14TensorAccessorINS3_8ArrayRefIlEET_Lm4ENS6_16DefaultPtrTraitsElEENS_6detail16IndexBoundsCheckILm5ElEESC_Lm5ESD_lEENS8_INS9_ISB_KSC_Lm4ESD_lEESH_SJ_Lm5ESD_lEElllll ; -- Begin function _ZN2at6native12_GLOBAL__N_136reflection_pad3d_backward_out_kernelIN3c108BFloat16EEEvN5torch10headeronly6detail27GenericPackedTensorAccessorINS7_14TensorAccessorINS3_8ArrayRefIlEET_Lm4ENS6_16DefaultPtrTraitsElEENS_6detail16IndexBoundsCheckILm5ElEESC_Lm5ESD_lEENS8_INS9_ISB_KSC_Lm4ESD_lEESH_SJ_Lm5ESD_lEElllll
	.p2align	8
	.type	_ZN2at6native12_GLOBAL__N_136reflection_pad3d_backward_out_kernelIN3c108BFloat16EEEvN5torch10headeronly6detail27GenericPackedTensorAccessorINS7_14TensorAccessorINS3_8ArrayRefIlEET_Lm4ENS6_16DefaultPtrTraitsElEENS_6detail16IndexBoundsCheckILm5ElEESC_Lm5ESD_lEENS8_INS9_ISB_KSC_Lm4ESD_lEESH_SJ_Lm5ESD_lEElllll,@function
_ZN2at6native12_GLOBAL__N_136reflection_pad3d_backward_out_kernelIN3c108BFloat16EEEvN5torch10headeronly6detail27GenericPackedTensorAccessorINS7_14TensorAccessorINS3_8ArrayRefIlEET_Lm4ENS6_16DefaultPtrTraitsElEENS_6detail16IndexBoundsCheckILm5ElEESC_Lm5ESD_lEENS8_INS9_ISB_KSC_Lm4ESD_lEESH_SJ_Lm5ESD_lEElllll: ; @_ZN2at6native12_GLOBAL__N_136reflection_pad3d_backward_out_kernelIN3c108BFloat16EEEvN5torch10headeronly6detail27GenericPackedTensorAccessorINS7_14TensorAccessorINS3_8ArrayRefIlEET_Lm4ENS6_16DefaultPtrTraitsElEENS_6detail16IndexBoundsCheckILm5ElEESC_Lm5ESD_lEENS8_INS9_ISB_KSC_Lm4ESD_lEESH_SJ_Lm5ESD_lEElllll
; %bb.0:
	s_load_dword s5, s[0:1], 0xe4
	s_load_dwordx4 s[8:11], s[0:1], 0x70
	s_load_dwordx2 s[34:35], s[0:1], 0x80
	v_mov_b32_e32 v2, 0
	v_mov_b32_e32 v1, v2
	s_waitcnt lgkmcnt(0)
	s_and_b32 s5, s5, 0xffff
	v_mov_b32_e32 v3, s2
	v_mad_u64_u32 v[0:1], s[6:7], s5, v3, v[0:1]
	s_mul_i32 s2, s34, s11
	s_mul_hi_u32 s5, s34, s10
	s_add_i32 s5, s5, s2
	s_mul_i32 s2, s35, s10
	s_add_i32 s5, s5, s2
	s_mul_i32 s2, s34, s10
	s_mul_i32 s6, s2, s9
	s_mul_hi_u32 s7, s2, s8
	s_add_i32 s6, s7, s6
	s_mul_i32 s7, s5, s8
	s_add_i32 s7, s6, s7
	s_mul_i32 s6, s2, s8
	v_cmp_gt_i64_e32 vcc, s[6:7], v[0:1]
	s_and_saveexec_b64 s[6:7], vcc
	s_cbranch_execz .LBB73_15
; %bb.1:
	v_or_b32_e32 v3, s35, v1
	v_cmp_ne_u64_e32 vcc, 0, v[2:3]
	v_ashrrev_i32_e32 v2, 31, v1
                                        ; implicit-def: $vgpr6_vgpr7
	s_and_saveexec_b64 s[6:7], vcc
	s_xor_b64 s[8:9], exec, s[6:7]
	s_cbranch_execz .LBB73_3
; %bb.2:
	s_ashr_i32 s12, s35, 31
	s_add_u32 s6, s34, s12
	s_mov_b32 s13, s12
	s_addc_u32 s7, s35, s12
	s_xor_b64 s[14:15], s[6:7], s[12:13]
	v_cvt_f32_u32_e32 v3, s14
	v_cvt_f32_u32_e32 v4, s15
	s_sub_u32 s13, 0, s14
	s_subb_u32 s16, 0, s15
	v_mov_b32_e32 v7, 0
	v_fmamk_f32 v3, v4, 0x4f800000, v3
	v_rcp_f32_e32 v3, v3
	s_nop 0
	v_mul_f32_e32 v3, 0x5f7ffffc, v3
	v_mul_f32_e32 v4, 0x2f800000, v3
	v_trunc_f32_e32 v4, v4
	v_fmamk_f32 v3, v4, 0xcf800000, v3
	v_cvt_u32_f32_e32 v4, v4
	v_cvt_u32_f32_e32 v3, v3
	v_readfirstlane_b32 s17, v4
	v_readfirstlane_b32 s6, v3
	s_mul_i32 s7, s13, s17
	s_mul_hi_u32 s19, s13, s6
	s_mul_i32 s18, s16, s6
	s_add_i32 s7, s19, s7
	s_add_i32 s7, s7, s18
	s_mul_i32 s20, s13, s6
	s_mul_i32 s19, s6, s7
	s_mul_hi_u32 s21, s6, s20
	s_mul_hi_u32 s18, s6, s7
	s_add_u32 s19, s21, s19
	s_addc_u32 s18, 0, s18
	s_mul_hi_u32 s22, s17, s20
	s_mul_i32 s20, s17, s20
	s_add_u32 s19, s19, s20
	s_mul_hi_u32 s21, s17, s7
	s_addc_u32 s18, s18, s22
	s_addc_u32 s19, s21, 0
	s_mul_i32 s7, s17, s7
	s_add_u32 s7, s18, s7
	s_addc_u32 s18, 0, s19
	s_add_u32 s19, s6, s7
	s_cselect_b64 s[6:7], -1, 0
	s_cmp_lg_u64 s[6:7], 0
	s_addc_u32 s17, s17, s18
	s_mul_i32 s6, s13, s17
	s_mul_hi_u32 s7, s13, s19
	s_add_i32 s6, s7, s6
	s_mul_i32 s16, s16, s19
	s_add_i32 s6, s6, s16
	s_mul_i32 s13, s13, s19
	s_mul_hi_u32 s16, s17, s13
	s_mul_i32 s18, s17, s13
	s_mul_i32 s21, s19, s6
	s_mul_hi_u32 s13, s19, s13
	s_mul_hi_u32 s20, s19, s6
	s_add_u32 s13, s13, s21
	s_addc_u32 s20, 0, s20
	s_add_u32 s13, s13, s18
	s_mul_hi_u32 s7, s17, s6
	s_addc_u32 s13, s20, s16
	s_addc_u32 s7, s7, 0
	s_mul_i32 s6, s17, s6
	s_add_u32 s6, s13, s6
	s_addc_u32 s13, 0, s7
	s_add_u32 s16, s19, s6
	s_cselect_b64 s[6:7], -1, 0
	v_mov_b32_e32 v3, v2
	s_cmp_lg_u64 s[6:7], 0
	v_lshl_add_u64 v[4:5], v[0:1], 0, v[2:3]
	s_addc_u32 s13, s17, s13
	v_xor_b32_e32 v12, v4, v2
	v_xor_b32_e32 v3, v5, v2
	v_mad_u64_u32 v[4:5], s[6:7], v12, s13, 0
	v_mul_hi_u32 v6, v12, s16
	v_lshl_add_u64 v[4:5], v[6:7], 0, v[4:5]
	v_mad_u64_u32 v[10:11], s[6:7], v3, s16, 0
	v_add_co_u32_e32 v4, vcc, v4, v10
	v_mad_u64_u32 v[8:9], s[6:7], v3, s13, 0
	s_nop 0
	v_addc_co_u32_e32 v6, vcc, v5, v11, vcc
	s_nop 1
	v_addc_co_u32_e32 v9, vcc, 0, v9, vcc
	v_lshl_add_u64 v[4:5], v[6:7], 0, v[8:9]
	v_mul_lo_u32 v8, s15, v4
	v_mul_lo_u32 v9, s14, v5
	v_mad_u64_u32 v[6:7], s[6:7], s14, v4, 0
	v_add3_u32 v10, v7, v9, v8
	v_sub_u32_e32 v7, v3, v10
	v_mov_b32_e32 v8, s15
	v_sub_co_u32_e32 v11, vcc, v12, v6
	s_nop 1
	v_subb_co_u32_e64 v6, s[6:7], v7, v8, vcc
	v_subrev_co_u32_e64 v7, s[6:7], s14, v11
	v_subb_co_u32_e32 v3, vcc, v3, v10, vcc
	s_nop 0
	v_subbrev_co_u32_e64 v6, s[6:7], 0, v6, s[6:7]
	v_cmp_le_u32_e64 s[6:7], s15, v6
	v_cmp_le_u32_e32 vcc, s15, v3
	s_nop 0
	v_cndmask_b32_e64 v8, 0, -1, s[6:7]
	v_cmp_le_u32_e64 s[6:7], s14, v7
	s_nop 1
	v_cndmask_b32_e64 v7, 0, -1, s[6:7]
	v_cmp_eq_u32_e64 s[6:7], s15, v6
	s_nop 1
	v_cndmask_b32_e64 v12, v8, v7, s[6:7]
	v_lshl_add_u64 v[6:7], v[4:5], 0, 2
	v_lshl_add_u64 v[8:9], v[4:5], 0, 1
	v_cmp_ne_u32_e64 s[6:7], 0, v12
	s_nop 1
	v_cndmask_b32_e64 v7, v9, v7, s[6:7]
	v_cndmask_b32_e64 v9, 0, -1, vcc
	v_cmp_le_u32_e32 vcc, s14, v11
	s_nop 1
	v_cndmask_b32_e64 v10, 0, -1, vcc
	v_cmp_eq_u32_e32 vcc, s15, v3
	s_nop 1
	v_cndmask_b32_e32 v3, v9, v10, vcc
	v_cmp_ne_u32_e32 vcc, 0, v3
	s_nop 1
	v_cndmask_b32_e32 v3, v5, v7, vcc
	v_cndmask_b32_e64 v5, v8, v6, s[6:7]
	v_cndmask_b32_e32 v4, v4, v5, vcc
	v_xor_b32_e32 v5, s12, v2
	v_xor_b32_e32 v4, v4, v5
	;; [unrolled: 1-line block ×3, first 2 shown]
	v_sub_co_u32_e32 v6, vcc, v4, v5
	s_nop 1
	v_subb_co_u32_e32 v7, vcc, v3, v5, vcc
.LBB73_3:
	s_andn2_saveexec_b64 s[6:7], s[8:9]
	s_cbranch_execz .LBB73_5
; %bb.4:
	v_cvt_f32_u32_e32 v3, s34
	s_sub_i32 s8, 0, s34
	v_mov_b32_e32 v7, 0
	v_rcp_iflag_f32_e32 v3, v3
	s_nop 0
	v_mul_f32_e32 v3, 0x4f7ffffe, v3
	v_cvt_u32_f32_e32 v3, v3
	v_mul_lo_u32 v4, s8, v3
	v_mul_hi_u32 v4, v3, v4
	v_add_u32_e32 v3, v3, v4
	v_mul_hi_u32 v3, v0, v3
	v_mul_lo_u32 v4, v3, s34
	v_sub_u32_e32 v4, v0, v4
	v_add_u32_e32 v5, 1, v3
	v_subrev_u32_e32 v6, s34, v4
	v_cmp_le_u32_e32 vcc, s34, v4
	s_nop 1
	v_cndmask_b32_e32 v4, v4, v6, vcc
	v_cndmask_b32_e32 v3, v3, v5, vcc
	v_add_u32_e32 v5, 1, v3
	v_cmp_le_u32_e32 vcc, s34, v4
	s_nop 1
	v_cndmask_b32_e32 v6, v3, v5, vcc
.LBB73_5:
	s_or_b64 exec, exec, s[6:7]
	v_or_b32_e32 v9, s11, v7
	v_mov_b32_e32 v8, 0
	v_cmp_ne_u64_e32 vcc, 0, v[8:9]
                                        ; implicit-def: $vgpr4_vgpr5
	s_and_saveexec_b64 s[6:7], vcc
	s_xor_b64 s[12:13], exec, s[6:7]
	s_cbranch_execz .LBB73_7
; %bb.6:
	s_ashr_i32 s6, s11, 31
	s_add_u32 s8, s10, s6
	s_mov_b32 s7, s6
	s_addc_u32 s9, s11, s6
	s_xor_b64 s[14:15], s[8:9], s[6:7]
	v_cvt_f32_u32_e32 v3, s14
	v_cvt_f32_u32_e32 v4, s15
	s_sub_u32 s8, 0, s14
	s_subb_u32 s9, 0, s15
	v_ashrrev_i32_e32 v10, 31, v7
	v_fmamk_f32 v3, v4, 0x4f800000, v3
	v_rcp_f32_e32 v3, v3
	v_mov_b32_e32 v11, v10
	v_mov_b32_e32 v13, v8
	v_mul_f32_e32 v3, 0x5f7ffffc, v3
	v_mul_f32_e32 v4, 0x2f800000, v3
	v_trunc_f32_e32 v4, v4
	v_fmamk_f32 v3, v4, 0xcf800000, v3
	v_cvt_u32_f32_e32 v4, v4
	v_cvt_u32_f32_e32 v3, v3
	v_readfirstlane_b32 s11, v4
	v_readfirstlane_b32 s6, v3
	s_mul_i32 s7, s8, s11
	s_mul_hi_u32 s17, s8, s6
	s_mul_i32 s16, s9, s6
	s_add_i32 s7, s17, s7
	s_add_i32 s7, s7, s16
	s_mul_i32 s18, s8, s6
	s_mul_i32 s17, s6, s7
	s_mul_hi_u32 s19, s6, s18
	s_mul_hi_u32 s16, s6, s7
	s_add_u32 s17, s19, s17
	s_addc_u32 s16, 0, s16
	s_mul_hi_u32 s20, s11, s18
	s_mul_i32 s18, s11, s18
	s_add_u32 s17, s17, s18
	s_mul_hi_u32 s19, s11, s7
	s_addc_u32 s16, s16, s20
	s_addc_u32 s17, s19, 0
	s_mul_i32 s7, s11, s7
	s_add_u32 s7, s16, s7
	s_addc_u32 s16, 0, s17
	s_add_u32 s17, s6, s7
	s_cselect_b64 s[6:7], -1, 0
	s_cmp_lg_u64 s[6:7], 0
	s_addc_u32 s11, s11, s16
	s_mul_i32 s6, s8, s11
	s_mul_hi_u32 s7, s8, s17
	s_add_i32 s6, s7, s6
	s_mul_i32 s9, s9, s17
	s_add_i32 s6, s6, s9
	s_mul_i32 s8, s8, s17
	s_mul_hi_u32 s9, s11, s8
	s_mul_i32 s16, s11, s8
	s_mul_i32 s19, s17, s6
	s_mul_hi_u32 s8, s17, s8
	s_mul_hi_u32 s18, s17, s6
	s_add_u32 s8, s8, s19
	s_addc_u32 s18, 0, s18
	s_add_u32 s8, s8, s16
	s_mul_hi_u32 s7, s11, s6
	s_addc_u32 s8, s18, s9
	s_addc_u32 s7, s7, 0
	s_mul_i32 s6, s11, s6
	s_add_u32 s6, s8, s6
	s_addc_u32 s8, 0, s7
	s_add_u32 s9, s17, s6
	s_cselect_b64 s[6:7], -1, 0
	s_cmp_lg_u64 s[6:7], 0
	v_lshl_add_u64 v[4:5], v[6:7], 0, v[10:11]
	s_addc_u32 s8, s11, s8
	v_xor_b32_e32 v9, v4, v10
	v_xor_b32_e32 v3, v5, v10
	v_mad_u64_u32 v[4:5], s[6:7], v9, s8, 0
	v_mul_hi_u32 v12, v9, s9
	v_lshl_add_u64 v[4:5], v[12:13], 0, v[4:5]
	v_mad_u64_u32 v[14:15], s[6:7], v3, s9, 0
	v_add_co_u32_e32 v4, vcc, v4, v14
	v_mad_u64_u32 v[12:13], s[6:7], v3, s8, 0
	s_nop 0
	v_addc_co_u32_e32 v4, vcc, v5, v15, vcc
	v_mov_b32_e32 v5, v8
	s_nop 0
	v_addc_co_u32_e32 v13, vcc, 0, v13, vcc
	v_lshl_add_u64 v[4:5], v[4:5], 0, v[12:13]
	v_mul_lo_u32 v8, s15, v4
	v_mul_lo_u32 v11, s14, v5
	v_mad_u64_u32 v[4:5], s[6:7], s14, v4, 0
	v_add3_u32 v5, v5, v11, v8
	v_sub_u32_e32 v8, v3, v5
	v_mov_b32_e32 v11, s15
	v_sub_co_u32_e32 v4, vcc, v9, v4
	s_nop 1
	v_subb_co_u32_e64 v8, s[6:7], v8, v11, vcc
	v_subrev_co_u32_e64 v9, s[6:7], s14, v4
	v_subb_co_u32_e32 v3, vcc, v3, v5, vcc
	s_nop 0
	v_subbrev_co_u32_e64 v12, s[8:9], 0, v8, s[6:7]
	v_cmp_le_u32_e64 s[8:9], s15, v12
	v_subb_co_u32_e64 v8, s[6:7], v8, v11, s[6:7]
	s_nop 0
	v_cndmask_b32_e64 v13, 0, -1, s[8:9]
	v_cmp_le_u32_e64 s[8:9], s14, v9
	v_subrev_co_u32_e64 v11, s[6:7], s14, v9
	s_nop 0
	v_cndmask_b32_e64 v14, 0, -1, s[8:9]
	v_cmp_eq_u32_e64 s[8:9], s15, v12
	v_subbrev_co_u32_e64 v8, s[6:7], 0, v8, s[6:7]
	s_nop 0
	v_cndmask_b32_e64 v13, v13, v14, s[8:9]
	v_cmp_le_u32_e32 vcc, s15, v3
	v_cmp_ne_u32_e64 s[6:7], 0, v13
	s_nop 0
	v_cndmask_b32_e64 v5, 0, -1, vcc
	v_cmp_le_u32_e32 vcc, s14, v4
	v_cndmask_b32_e64 v8, v12, v8, s[6:7]
	s_nop 0
	v_cndmask_b32_e64 v12, 0, -1, vcc
	v_cmp_eq_u32_e32 vcc, s15, v3
	s_nop 1
	v_cndmask_b32_e32 v5, v5, v12, vcc
	v_cmp_ne_u32_e32 vcc, 0, v5
	v_cndmask_b32_e64 v5, v9, v11, s[6:7]
	s_nop 0
	v_cndmask_b32_e32 v4, v4, v5, vcc
	v_cndmask_b32_e32 v3, v3, v8, vcc
	v_xor_b32_e32 v4, v4, v10
	v_xor_b32_e32 v3, v3, v10
	v_sub_co_u32_e32 v4, vcc, v4, v10
	s_nop 1
	v_subb_co_u32_e32 v5, vcc, v3, v10, vcc
.LBB73_7:
	s_or_saveexec_b64 s[6:7], s[12:13]
	s_load_dwordx2 s[44:45], s[0:1], 0xa8
	s_load_dwordx8 s[24:31], s[0:1], 0x88
	s_xor_b64 exec, exec, s[6:7]
	s_cbranch_execz .LBB73_9
; %bb.8:
	v_cvt_f32_u32_e32 v3, s10
	s_sub_i32 s8, 0, s10
	v_mov_b32_e32 v5, 0
	v_rcp_iflag_f32_e32 v3, v3
	s_nop 0
	v_mul_f32_e32 v3, 0x4f7ffffe, v3
	v_cvt_u32_f32_e32 v3, v3
	v_mul_lo_u32 v4, s8, v3
	v_mul_hi_u32 v4, v3, v4
	v_add_u32_e32 v3, v3, v4
	v_mul_hi_u32 v3, v6, v3
	v_mul_lo_u32 v3, v3, s10
	v_sub_u32_e32 v3, v6, v3
	v_subrev_u32_e32 v4, s10, v3
	v_cmp_le_u32_e32 vcc, s10, v3
	s_nop 1
	v_cndmask_b32_e32 v3, v3, v4, vcc
	v_subrev_u32_e32 v4, s10, v3
	v_cmp_le_u32_e32 vcc, s10, v3
	s_nop 1
	v_cndmask_b32_e32 v4, v3, v4, vcc
.LBB73_9:
	s_or_b64 exec, exec, s[6:7]
	s_load_dwordx2 s[48:49], s[0:1], 0x58
	s_load_dwordx2 s[46:47], s[0:1], 0x0
	v_or_b32_e32 v11, s5, v1
	v_mov_b32_e32 v10, 0
	v_cmp_ne_u64_e32 vcc, 0, v[10:11]
                                        ; implicit-def: $vgpr8_vgpr9
	s_and_saveexec_b64 s[6:7], vcc
	s_xor_b64 s[8:9], exec, s[6:7]
	s_cbranch_execz .LBB73_11
; %bb.10:
	s_ashr_i32 s10, s5, 31
	s_add_u32 s6, s2, s10
	s_mov_b32 s11, s10
	s_addc_u32 s7, s5, s10
	s_xor_b64 s[12:13], s[6:7], s[10:11]
	v_cvt_f32_u32_e32 v3, s12
	v_cvt_f32_u32_e32 v8, s13
	s_sub_u32 s5, 0, s12
	s_subb_u32 s11, 0, s13
	v_mov_b32_e32 v13, v10
	v_fmamk_f32 v3, v8, 0x4f800000, v3
	v_rcp_f32_e32 v3, v3
	s_nop 0
	v_mul_f32_e32 v3, 0x5f7ffffc, v3
	v_mul_f32_e32 v8, 0x2f800000, v3
	v_trunc_f32_e32 v8, v8
	v_fmamk_f32 v3, v8, 0xcf800000, v3
	v_cvt_u32_f32_e32 v8, v8
	v_cvt_u32_f32_e32 v3, v3
	v_readfirstlane_b32 s14, v8
	v_readfirstlane_b32 s6, v3
	s_mul_i32 s7, s5, s14
	s_mul_hi_u32 s16, s5, s6
	s_mul_i32 s15, s11, s6
	s_add_i32 s7, s16, s7
	s_add_i32 s7, s7, s15
	s_mul_i32 s17, s5, s6
	s_mul_i32 s16, s6, s7
	s_mul_hi_u32 s18, s6, s17
	s_mul_hi_u32 s15, s6, s7
	s_add_u32 s16, s18, s16
	s_addc_u32 s15, 0, s15
	s_mul_hi_u32 s19, s14, s17
	s_mul_i32 s17, s14, s17
	s_add_u32 s16, s16, s17
	s_mul_hi_u32 s18, s14, s7
	s_addc_u32 s15, s15, s19
	s_addc_u32 s16, s18, 0
	s_mul_i32 s7, s14, s7
	s_add_u32 s7, s15, s7
	s_addc_u32 s15, 0, s16
	s_add_u32 s16, s6, s7
	s_cselect_b64 s[6:7], -1, 0
	s_cmp_lg_u64 s[6:7], 0
	s_addc_u32 s14, s14, s15
	s_mul_i32 s6, s5, s14
	s_mul_hi_u32 s7, s5, s16
	s_add_i32 s6, s7, s6
	s_mul_i32 s11, s11, s16
	s_add_i32 s6, s6, s11
	s_mul_i32 s5, s5, s16
	s_mul_hi_u32 s11, s14, s5
	s_mul_i32 s15, s14, s5
	s_mul_i32 s18, s16, s6
	s_mul_hi_u32 s5, s16, s5
	s_mul_hi_u32 s17, s16, s6
	s_add_u32 s5, s5, s18
	s_addc_u32 s17, 0, s17
	s_add_u32 s5, s5, s15
	s_mul_hi_u32 s7, s14, s6
	s_addc_u32 s5, s17, s11
	s_addc_u32 s7, s7, 0
	s_mul_i32 s6, s14, s6
	s_add_u32 s5, s5, s6
	s_addc_u32 s11, 0, s7
	s_add_u32 s5, s16, s5
	s_cselect_b64 s[6:7], -1, 0
	v_mov_b32_e32 v3, v2
	s_cmp_lg_u64 s[6:7], 0
	v_lshl_add_u64 v[8:9], v[0:1], 0, v[2:3]
	s_addc_u32 s11, s14, s11
	v_xor_b32_e32 v16, v8, v2
	v_xor_b32_e32 v3, v9, v2
	v_mad_u64_u32 v[8:9], s[6:7], v16, s11, 0
	v_mul_hi_u32 v12, v16, s5
	v_lshl_add_u64 v[8:9], v[12:13], 0, v[8:9]
	v_mad_u64_u32 v[14:15], s[6:7], v3, s5, 0
	v_add_co_u32_e32 v8, vcc, v8, v14
	v_mad_u64_u32 v[12:13], s[6:7], v3, s11, 0
	s_nop 0
	v_addc_co_u32_e32 v8, vcc, v9, v15, vcc
	v_mov_b32_e32 v9, v10
	s_nop 0
	v_addc_co_u32_e32 v13, vcc, 0, v13, vcc
	v_lshl_add_u64 v[8:9], v[8:9], 0, v[12:13]
	v_mul_lo_u32 v12, s13, v8
	v_mul_lo_u32 v13, s12, v9
	v_mad_u64_u32 v[10:11], s[6:7], s12, v8, 0
	v_add3_u32 v14, v11, v13, v12
	v_sub_u32_e32 v11, v3, v14
	v_mov_b32_e32 v12, s13
	v_sub_co_u32_e32 v15, vcc, v16, v10
	v_xor_b32_e32 v2, s10, v2
	s_nop 0
	v_subb_co_u32_e64 v10, s[6:7], v11, v12, vcc
	v_subrev_co_u32_e64 v11, s[6:7], s12, v15
	v_subb_co_u32_e32 v3, vcc, v3, v14, vcc
	s_nop 0
	v_subbrev_co_u32_e64 v10, s[6:7], 0, v10, s[6:7]
	v_cmp_le_u32_e64 s[6:7], s13, v10
	v_cmp_le_u32_e32 vcc, s13, v3
	s_nop 0
	v_cndmask_b32_e64 v12, 0, -1, s[6:7]
	v_cmp_le_u32_e64 s[6:7], s12, v11
	s_nop 1
	v_cndmask_b32_e64 v11, 0, -1, s[6:7]
	v_cmp_eq_u32_e64 s[6:7], s13, v10
	s_nop 1
	v_cndmask_b32_e64 v16, v12, v11, s[6:7]
	v_lshl_add_u64 v[10:11], v[8:9], 0, 2
	v_lshl_add_u64 v[12:13], v[8:9], 0, 1
	v_cmp_ne_u32_e64 s[6:7], 0, v16
	s_nop 1
	v_cndmask_b32_e64 v11, v13, v11, s[6:7]
	v_cndmask_b32_e64 v13, 0, -1, vcc
	v_cmp_le_u32_e32 vcc, s12, v15
	s_nop 1
	v_cndmask_b32_e64 v14, 0, -1, vcc
	v_cmp_eq_u32_e32 vcc, s13, v3
	s_nop 1
	v_cndmask_b32_e32 v3, v13, v14, vcc
	v_cmp_ne_u32_e32 vcc, 0, v3
	s_nop 1
	v_cndmask_b32_e32 v3, v9, v11, vcc
	v_cndmask_b32_e64 v9, v12, v10, s[6:7]
	v_cndmask_b32_e32 v8, v8, v9, vcc
	v_xor_b32_e32 v8, v8, v2
	v_xor_b32_e32 v3, v3, v2
	v_sub_co_u32_e32 v8, vcc, v8, v2
	s_nop 1
	v_subb_co_u32_e32 v9, vcc, v3, v2, vcc
.LBB73_11:
	s_or_saveexec_b64 s[6:7], s[8:9]
	s_load_dwordx16 s[8:23], s[0:1], 0x18
	s_xor_b64 exec, exec, s[6:7]
	s_cbranch_execz .LBB73_13
; %bb.12:
	v_cvt_f32_u32_e32 v2, s2
	s_sub_i32 s5, 0, s2
	v_rcp_iflag_f32_e32 v2, v2
	s_nop 0
	v_mul_f32_e32 v2, 0x4f7ffffe, v2
	v_cvt_u32_f32_e32 v2, v2
	v_mul_lo_u32 v3, s5, v2
	v_mul_hi_u32 v3, v2, v3
	v_add_u32_e32 v2, v2, v3
	v_mul_hi_u32 v2, v0, v2
	v_mul_lo_u32 v3, v2, s2
	v_sub_u32_e32 v3, v0, v3
	v_add_u32_e32 v8, 1, v2
	v_subrev_u32_e32 v9, s2, v3
	v_cmp_le_u32_e32 vcc, s2, v3
	s_nop 1
	v_cndmask_b32_e32 v3, v3, v9, vcc
	v_cndmask_b32_e32 v2, v2, v8, vcc
	v_add_u32_e32 v8, 1, v2
	v_cmp_le_u32_e32 vcc, s2, v3
	v_mov_b32_e32 v9, 0
	s_nop 0
	v_cndmask_b32_e32 v8, v2, v8, vcc
.LBB73_13:
	s_or_b64 exec, exec, s[6:7]
	s_load_dwordx8 s[36:43], s[0:1], 0xb0
	v_mad_u64_u32 v[2:3], s[6:7], v6, s34, 0
	v_mul_lo_u32 v7, v7, s34
	v_mul_lo_u32 v10, v6, s35
	s_waitcnt lgkmcnt(0)
	s_sub_u32 s6, 0, s36
	s_subb_u32 s7, 0, s37
	s_sub_u32 s34, 0, s38
	s_subb_u32 s35, 0, s39
	;; [unrolled: 2-line block ×3, first 2 shown]
	v_cmp_gt_i64_e64 s[52:53], s[6:7], 0
	s_and_b64 s[52:53], s[52:53], exec
	s_cselect_b32 s2, s7, 0
	s_cselect_b32 s5, s6, 0
	v_cmp_gt_i64_e64 s[6:7], s[36:37], 0
	s_and_b64 s[6:7], s[6:7], exec
	v_cmp_gt_i64_e64 s[6:7], s[34:35], 0
	s_cselect_b32 s53, s37, 0
	s_cselect_b32 s52, s36, 0
	s_and_b64 s[6:7], s[6:7], exec
	v_add3_u32 v3, v3, v10, v7
	v_sub_co_u32_e32 v0, vcc, v0, v2
	v_cmp_gt_i64_e64 s[6:7], s[38:39], 0
	s_nop 0
	v_subb_co_u32_e32 v1, vcc, v1, v3, vcc
	s_cselect_b32 s33, s35, 0
	s_cselect_b32 s54, s34, 0
	s_and_b64 s[6:7], s[6:7], exec
	v_cmp_gt_i64_e64 s[6:7], s[50:51], 0
	v_mov_b32_e32 v2, s37
	v_subrev_co_u32_e32 v3, vcc, s36, v0
	s_cselect_b32 s35, s39, 0
	s_cselect_b32 s34, s38, 0
	s_and_b64 s[6:7], s[6:7], exec
	v_subb_co_u32_e32 v2, vcc, v1, v2, vcc
	v_cmp_gt_i64_e64 s[6:7], s[40:41], 0
	v_ashrrev_i32_e32 v6, 31, v2
	s_cselect_b32 s55, s51, 0
	s_cselect_b32 s56, s50, 0
	s_and_b64 s[6:7], s[6:7], exec
	v_xor_b32_e32 v7, v2, v6
	v_xor_b32_e32 v2, v3, v6
	s_cselect_b32 s7, s41, 0
	s_cselect_b32 s6, s40, 0
	v_sub_co_u32_e32 v2, vcc, v2, v6
	s_add_u32 s50, s36, s12
	s_nop 0
	v_subb_co_u32_e32 v3, vcc, v7, v6, vcc
	s_addc_u32 s51, s37, s13
	v_mov_b32_e32 v7, s51
	v_subrev_co_u32_e32 v6, vcc, s50, v0
	s_lshl_b64 s[36:37], s[36:37], 1
	s_nop 0
	v_subb_co_u32_e32 v7, vcc, v1, v7, vcc
	s_not_b64 s[50:51], s[52:53]
	v_lshl_add_u64 v[6:7], v[6:7], 0, 1
	s_add_u32 s36, s36, s50
	v_ashrrev_i32_e32 v10, 31, v7
	s_addc_u32 s37, s37, s51
	v_xor_b32_e32 v6, v6, v10
	s_add_u32 s5, s36, s5
	v_xor_b32_e32 v7, v7, v10
	v_sub_co_u32_e32 v6, vcc, v6, v10
	s_addc_u32 s2, s37, s2
	s_nop 0
	v_subb_co_u32_e32 v7, vcc, v7, v10, vcc
	s_add_u32 s5, s5, s12
	s_addc_u32 s2, s2, s13
	v_lshl_add_u64 v[6:7], v[0:1], 0, v[6:7]
	v_mov_b32_e32 v10, s2
	v_sub_co_u32_e32 v6, vcc, s5, v6
	s_add_u32 s2, s38, s10
	s_nop 0
	v_subb_co_u32_e32 v7, vcc, v10, v7, vcc
	v_lshl_add_u64 v[2:3], v[6:7], 0, v[2:3]
	v_mov_b32_e32 v6, s39
	v_subrev_co_u32_e32 v7, vcc, s38, v4
	s_addc_u32 s5, s39, s11
	s_nop 0
	v_subb_co_u32_e32 v6, vcc, v5, v6, vcc
	v_ashrrev_i32_e32 v10, 31, v6
	v_xor_b32_e32 v11, v6, v10
	v_xor_b32_e32 v6, v7, v10
	v_sub_co_u32_e32 v6, vcc, v6, v10
	s_lshl_b64 s[12:13], s[38:39], 1
	s_nop 0
	v_subb_co_u32_e32 v7, vcc, v11, v10, vcc
	v_mov_b32_e32 v11, s5
	v_subrev_co_u32_e32 v10, vcc, s2, v4
	s_not_b64 s[34:35], s[34:35]
	s_nop 0
	v_subb_co_u32_e32 v11, vcc, v5, v11, vcc
	v_lshl_add_u64 v[10:11], v[10:11], 0, 1
	s_add_u32 s2, s12, s34
	v_ashrrev_i32_e32 v12, 31, v11
	s_addc_u32 s5, s13, s35
	v_xor_b32_e32 v10, v10, v12
	s_add_u32 s2, s2, s54
	v_xor_b32_e32 v11, v11, v12
	v_sub_co_u32_e32 v10, vcc, v10, v12
	s_addc_u32 s5, s5, s33
	s_nop 0
	v_subb_co_u32_e32 v11, vcc, v11, v12, vcc
	s_add_u32 s2, s2, s10
	s_addc_u32 s5, s5, s11
	v_lshl_add_u64 v[10:11], v[4:5], 0, v[10:11]
	v_mov_b32_e32 v12, s5
	v_sub_co_u32_e32 v10, vcc, s2, v10
	s_add_u32 s2, s40, s8
	s_nop 0
	v_subb_co_u32_e32 v11, vcc, v12, v11, vcc
	v_lshl_add_u64 v[6:7], v[10:11], 0, v[6:7]
	v_mov_b32_e32 v10, s41
	v_subrev_co_u32_e32 v11, vcc, s40, v8
	s_addc_u32 s5, s41, s9
	s_nop 0
	v_subb_co_u32_e32 v10, vcc, v9, v10, vcc
	v_ashrrev_i32_e32 v12, 31, v10
	v_xor_b32_e32 v13, v10, v12
	v_xor_b32_e32 v10, v11, v12
	v_sub_co_u32_e32 v10, vcc, v10, v12
	s_lshl_b64 s[10:11], s[40:41], 1
	s_nop 0
	v_subb_co_u32_e32 v11, vcc, v13, v12, vcc
	s_not_b64 s[6:7], s[6:7]
	v_mov_b32_e32 v13, s5
	v_subrev_co_u32_e32 v12, vcc, s2, v8
	s_add_u32 s2, s10, s6
	s_nop 0
	v_subb_co_u32_e32 v13, vcc, v9, v13, vcc
	s_addc_u32 s5, s11, s7
	v_lshl_add_u64 v[12:13], v[12:13], 0, 1
	s_add_u32 s2, s2, s56
	s_load_dwordx2 s[0:1], s[0:1], 0xd0
	v_ashrrev_i32_e32 v14, 31, v13
	s_addc_u32 s5, s5, s55
	v_xor_b32_e32 v12, v12, v14
	s_add_u32 s2, s2, s8
	v_xor_b32_e32 v13, v13, v14
	v_sub_co_u32_e32 v12, vcc, v12, v14
	s_addc_u32 s5, s5, s9
	s_nop 0
	v_subb_co_u32_e32 v13, vcc, v13, v14, vcc
	v_mov_b32_e32 v14, s5
	s_add_u32 s5, s42, s3
	s_addc_u32 s6, s43, 0
	s_waitcnt lgkmcnt(0)
	s_add_u32 s4, s0, s4
	s_addc_u32 s7, s1, 0
	s_mul_i32 s0, s24, s7
	s_mul_hi_u32 s1, s24, s4
	s_add_i32 s0, s1, s0
	s_mul_i32 s1, s25, s4
	s_add_i32 s1, s0, s1
	s_mul_i32 s0, s24, s4
	v_lshl_add_u64 v[12:13], v[8:9], 0, v[12:13]
	s_lshl_b64 s[0:1], s[0:1], 1
	v_sub_co_u32_e32 v12, vcc, s2, v12
	s_add_u32 s2, s48, s0
	s_addc_u32 s3, s49, s1
	s_mul_i32 s0, s26, s6
	s_mul_hi_u32 s1, s26, s5
	s_add_i32 s0, s1, s0
	s_mul_i32 s1, s27, s5
	s_add_i32 s1, s0, s1
	s_mul_i32 s0, s26, s5
	s_lshl_b64 s[0:1], s[0:1], 1
	v_subb_co_u32_e32 v13, vcc, v14, v13, vcc
	s_add_u32 s0, s2, s0
	v_lshl_add_u64 v[10:11], v[12:13], 0, v[10:11]
	s_addc_u32 s1, s3, s1
	v_mul_lo_u32 v12, v9, s28
	v_mul_lo_u32 v13, v8, s29
	v_mad_u64_u32 v[8:9], s[2:3], v8, s28, 0
	v_add3_u32 v9, v9, v13, v12
	v_lshl_add_u64 v[8:9], v[8:9], 1, s[0:1]
	v_mul_lo_u32 v12, v5, s30
	v_mul_lo_u32 v13, v4, s31
	v_mad_u64_u32 v[4:5], s[0:1], v4, s30, 0
	v_add3_u32 v5, v5, v13, v12
	v_lshl_add_u64 v[4:5], v[4:5], 1, v[8:9]
	v_mul_lo_u32 v8, v1, s44
	v_mul_lo_u32 v9, v0, s45
	v_mad_u64_u32 v[0:1], s[0:1], v0, s44, 0
	s_mul_i32 s0, s14, s7
	s_mul_hi_u32 s1, s14, s4
	s_add_i32 s0, s1, s0
	s_mul_i32 s1, s15, s4
	s_add_i32 s1, s0, s1
	s_mul_i32 s0, s14, s4
	s_lshl_b64 s[0:1], s[0:1], 1
	s_add_u32 s2, s46, s0
	s_addc_u32 s3, s47, s1
	s_mul_i32 s0, s16, s6
	s_mul_hi_u32 s1, s16, s5
	s_add_i32 s0, s1, s0
	s_mul_i32 s1, s17, s5
	s_add_i32 s1, s0, s1
	s_mul_i32 s0, s16, s5
	s_lshl_b64 s[0:1], s[0:1], 1
	v_add3_u32 v1, v1, v9, v8
	s_add_u32 s0, s2, s0
	v_lshl_add_u64 v[0:1], v[0:1], 1, v[4:5]
	s_addc_u32 s1, s3, s1
	v_mul_lo_u32 v8, v11, s18
	v_mul_lo_u32 v9, v10, s19
	v_mad_u64_u32 v[4:5], s[2:3], v10, s18, 0
	v_add3_u32 v5, v5, v9, v8
	v_lshl_add_u64 v[4:5], v[4:5], 1, s[0:1]
	v_mul_lo_u32 v8, v7, s20
	v_mul_lo_u32 v9, v6, s21
	v_mad_u64_u32 v[6:7], s[0:1], v6, s20, 0
	v_add3_u32 v7, v7, v9, v8
	v_lshl_add_u64 v[4:5], v[6:7], 1, v[4:5]
	;; [unrolled: 5-line block ×3, first 2 shown]
	v_and_b32_e32 v4, 2, v2
	global_load_ushort v6, v[0:1], off
	v_sub_co_u32_e32 v0, vcc, 0, v4
	v_mov_b32_e32 v5, 0
	s_nop 0
	v_subb_co_u32_e64 v1, s[0:1], 0, 0, vcc
	v_lshl_add_u64 v[0:1], v[2:3], 0, v[0:1]
	global_load_dword v3, v[0:1], off
	s_mov_b64 s[2:3], 0
	v_cmp_eq_u64_e64 s[0:1], 0, v[4:5]
	s_movk_i32 s4, 0x7fff
	s_mov_b32 s5, 0xffff0000
	v_mov_b32_e32 v5, 0x7fc0
	s_waitcnt vmcnt(1)
	v_lshlrev_b32_e32 v4, 16, v6
.LBB73_14:                              ; =>This Inner Loop Header: Depth=1
	s_mov_b64 vcc, s[0:1]
	s_waitcnt vmcnt(0)
	v_and_b32_e32 v2, 0xffff, v3
	v_cndmask_b32_sdwa v6, v3, v2, vcc dst_sel:WORD_1 dst_unused:UNUSED_PAD src0_sel:WORD_1 src1_sel:DWORD
	s_nop 0
	v_add_f32_e32 v6, v4, v6
	v_bfe_u32 v7, v6, 16, 1
	v_cmp_o_f32_e32 vcc, v6, v6
	v_add3_u32 v6, v6, v7, s4
	s_nop 0
	v_cndmask_b32_sdwa v6, v5, v6, vcc dst_sel:DWORD dst_unused:UNUSED_PAD src0_sel:DWORD src1_sel:WORD_1
	v_lshl_or_b32 v2, v6, 16, v2
	v_and_or_b32 v6, v3, s5, v6
	v_cndmask_b32_e64 v2, v2, v6, s[0:1]
	global_atomic_cmpswap v2, v[0:1], v[2:3], off sc0
	s_waitcnt vmcnt(0)
	v_cmp_eq_u32_e32 vcc, v3, v2
	s_or_b64 s[2:3], vcc, s[2:3]
	v_mov_b32_e32 v3, v2
	s_andn2_b64 exec, exec, s[2:3]
	s_cbranch_execnz .LBB73_14
.LBB73_15:
	s_endpgm
	.section	.rodata,"a",@progbits
	.p2align	6, 0x0
	.amdhsa_kernel _ZN2at6native12_GLOBAL__N_136reflection_pad3d_backward_out_kernelIN3c108BFloat16EEEvN5torch10headeronly6detail27GenericPackedTensorAccessorINS7_14TensorAccessorINS3_8ArrayRefIlEET_Lm4ENS6_16DefaultPtrTraitsElEENS_6detail16IndexBoundsCheckILm5ElEESC_Lm5ESD_lEENS8_INS9_ISB_KSC_Lm4ESD_lEESH_SJ_Lm5ESD_lEElllll
		.amdhsa_group_segment_fixed_size 0
		.amdhsa_private_segment_fixed_size 0
		.amdhsa_kernarg_size 472
		.amdhsa_user_sgpr_count 2
		.amdhsa_user_sgpr_dispatch_ptr 0
		.amdhsa_user_sgpr_queue_ptr 0
		.amdhsa_user_sgpr_kernarg_segment_ptr 1
		.amdhsa_user_sgpr_dispatch_id 0
		.amdhsa_user_sgpr_kernarg_preload_length 0
		.amdhsa_user_sgpr_kernarg_preload_offset 0
		.amdhsa_user_sgpr_private_segment_size 0
		.amdhsa_uses_dynamic_stack 0
		.amdhsa_enable_private_segment 0
		.amdhsa_system_sgpr_workgroup_id_x 1
		.amdhsa_system_sgpr_workgroup_id_y 1
		.amdhsa_system_sgpr_workgroup_id_z 1
		.amdhsa_system_sgpr_workgroup_info 0
		.amdhsa_system_vgpr_workitem_id 0
		.amdhsa_next_free_vgpr 17
		.amdhsa_next_free_sgpr 57
		.amdhsa_accum_offset 20
		.amdhsa_reserve_vcc 1
		.amdhsa_float_round_mode_32 0
		.amdhsa_float_round_mode_16_64 0
		.amdhsa_float_denorm_mode_32 3
		.amdhsa_float_denorm_mode_16_64 3
		.amdhsa_dx10_clamp 1
		.amdhsa_ieee_mode 1
		.amdhsa_fp16_overflow 0
		.amdhsa_tg_split 0
		.amdhsa_exception_fp_ieee_invalid_op 0
		.amdhsa_exception_fp_denorm_src 0
		.amdhsa_exception_fp_ieee_div_zero 0
		.amdhsa_exception_fp_ieee_overflow 0
		.amdhsa_exception_fp_ieee_underflow 0
		.amdhsa_exception_fp_ieee_inexact 0
		.amdhsa_exception_int_div_zero 0
	.end_amdhsa_kernel
	.section	.text._ZN2at6native12_GLOBAL__N_136reflection_pad3d_backward_out_kernelIN3c108BFloat16EEEvN5torch10headeronly6detail27GenericPackedTensorAccessorINS7_14TensorAccessorINS3_8ArrayRefIlEET_Lm4ENS6_16DefaultPtrTraitsElEENS_6detail16IndexBoundsCheckILm5ElEESC_Lm5ESD_lEENS8_INS9_ISB_KSC_Lm4ESD_lEESH_SJ_Lm5ESD_lEElllll,"axG",@progbits,_ZN2at6native12_GLOBAL__N_136reflection_pad3d_backward_out_kernelIN3c108BFloat16EEEvN5torch10headeronly6detail27GenericPackedTensorAccessorINS7_14TensorAccessorINS3_8ArrayRefIlEET_Lm4ENS6_16DefaultPtrTraitsElEENS_6detail16IndexBoundsCheckILm5ElEESC_Lm5ESD_lEENS8_INS9_ISB_KSC_Lm4ESD_lEESH_SJ_Lm5ESD_lEElllll,comdat
.Lfunc_end73:
	.size	_ZN2at6native12_GLOBAL__N_136reflection_pad3d_backward_out_kernelIN3c108BFloat16EEEvN5torch10headeronly6detail27GenericPackedTensorAccessorINS7_14TensorAccessorINS3_8ArrayRefIlEET_Lm4ENS6_16DefaultPtrTraitsElEENS_6detail16IndexBoundsCheckILm5ElEESC_Lm5ESD_lEENS8_INS9_ISB_KSC_Lm4ESD_lEESH_SJ_Lm5ESD_lEElllll, .Lfunc_end73-_ZN2at6native12_GLOBAL__N_136reflection_pad3d_backward_out_kernelIN3c108BFloat16EEEvN5torch10headeronly6detail27GenericPackedTensorAccessorINS7_14TensorAccessorINS3_8ArrayRefIlEET_Lm4ENS6_16DefaultPtrTraitsElEENS_6detail16IndexBoundsCheckILm5ElEESC_Lm5ESD_lEENS8_INS9_ISB_KSC_Lm4ESD_lEESH_SJ_Lm5ESD_lEElllll
                                        ; -- End function
	.set _ZN2at6native12_GLOBAL__N_136reflection_pad3d_backward_out_kernelIN3c108BFloat16EEEvN5torch10headeronly6detail27GenericPackedTensorAccessorINS7_14TensorAccessorINS3_8ArrayRefIlEET_Lm4ENS6_16DefaultPtrTraitsElEENS_6detail16IndexBoundsCheckILm5ElEESC_Lm5ESD_lEENS8_INS9_ISB_KSC_Lm4ESD_lEESH_SJ_Lm5ESD_lEElllll.num_vgpr, 17
	.set _ZN2at6native12_GLOBAL__N_136reflection_pad3d_backward_out_kernelIN3c108BFloat16EEEvN5torch10headeronly6detail27GenericPackedTensorAccessorINS7_14TensorAccessorINS3_8ArrayRefIlEET_Lm4ENS6_16DefaultPtrTraitsElEENS_6detail16IndexBoundsCheckILm5ElEESC_Lm5ESD_lEENS8_INS9_ISB_KSC_Lm4ESD_lEESH_SJ_Lm5ESD_lEElllll.num_agpr, 0
	.set _ZN2at6native12_GLOBAL__N_136reflection_pad3d_backward_out_kernelIN3c108BFloat16EEEvN5torch10headeronly6detail27GenericPackedTensorAccessorINS7_14TensorAccessorINS3_8ArrayRefIlEET_Lm4ENS6_16DefaultPtrTraitsElEENS_6detail16IndexBoundsCheckILm5ElEESC_Lm5ESD_lEENS8_INS9_ISB_KSC_Lm4ESD_lEESH_SJ_Lm5ESD_lEElllll.numbered_sgpr, 57
	.set _ZN2at6native12_GLOBAL__N_136reflection_pad3d_backward_out_kernelIN3c108BFloat16EEEvN5torch10headeronly6detail27GenericPackedTensorAccessorINS7_14TensorAccessorINS3_8ArrayRefIlEET_Lm4ENS6_16DefaultPtrTraitsElEENS_6detail16IndexBoundsCheckILm5ElEESC_Lm5ESD_lEENS8_INS9_ISB_KSC_Lm4ESD_lEESH_SJ_Lm5ESD_lEElllll.num_named_barrier, 0
	.set _ZN2at6native12_GLOBAL__N_136reflection_pad3d_backward_out_kernelIN3c108BFloat16EEEvN5torch10headeronly6detail27GenericPackedTensorAccessorINS7_14TensorAccessorINS3_8ArrayRefIlEET_Lm4ENS6_16DefaultPtrTraitsElEENS_6detail16IndexBoundsCheckILm5ElEESC_Lm5ESD_lEENS8_INS9_ISB_KSC_Lm4ESD_lEESH_SJ_Lm5ESD_lEElllll.private_seg_size, 0
	.set _ZN2at6native12_GLOBAL__N_136reflection_pad3d_backward_out_kernelIN3c108BFloat16EEEvN5torch10headeronly6detail27GenericPackedTensorAccessorINS7_14TensorAccessorINS3_8ArrayRefIlEET_Lm4ENS6_16DefaultPtrTraitsElEENS_6detail16IndexBoundsCheckILm5ElEESC_Lm5ESD_lEENS8_INS9_ISB_KSC_Lm4ESD_lEESH_SJ_Lm5ESD_lEElllll.uses_vcc, 1
	.set _ZN2at6native12_GLOBAL__N_136reflection_pad3d_backward_out_kernelIN3c108BFloat16EEEvN5torch10headeronly6detail27GenericPackedTensorAccessorINS7_14TensorAccessorINS3_8ArrayRefIlEET_Lm4ENS6_16DefaultPtrTraitsElEENS_6detail16IndexBoundsCheckILm5ElEESC_Lm5ESD_lEENS8_INS9_ISB_KSC_Lm4ESD_lEESH_SJ_Lm5ESD_lEElllll.uses_flat_scratch, 0
	.set _ZN2at6native12_GLOBAL__N_136reflection_pad3d_backward_out_kernelIN3c108BFloat16EEEvN5torch10headeronly6detail27GenericPackedTensorAccessorINS7_14TensorAccessorINS3_8ArrayRefIlEET_Lm4ENS6_16DefaultPtrTraitsElEENS_6detail16IndexBoundsCheckILm5ElEESC_Lm5ESD_lEENS8_INS9_ISB_KSC_Lm4ESD_lEESH_SJ_Lm5ESD_lEElllll.has_dyn_sized_stack, 0
	.set _ZN2at6native12_GLOBAL__N_136reflection_pad3d_backward_out_kernelIN3c108BFloat16EEEvN5torch10headeronly6detail27GenericPackedTensorAccessorINS7_14TensorAccessorINS3_8ArrayRefIlEET_Lm4ENS6_16DefaultPtrTraitsElEENS_6detail16IndexBoundsCheckILm5ElEESC_Lm5ESD_lEENS8_INS9_ISB_KSC_Lm4ESD_lEESH_SJ_Lm5ESD_lEElllll.has_recursion, 0
	.set _ZN2at6native12_GLOBAL__N_136reflection_pad3d_backward_out_kernelIN3c108BFloat16EEEvN5torch10headeronly6detail27GenericPackedTensorAccessorINS7_14TensorAccessorINS3_8ArrayRefIlEET_Lm4ENS6_16DefaultPtrTraitsElEENS_6detail16IndexBoundsCheckILm5ElEESC_Lm5ESD_lEENS8_INS9_ISB_KSC_Lm4ESD_lEESH_SJ_Lm5ESD_lEElllll.has_indirect_call, 0
	.section	.AMDGPU.csdata,"",@progbits
; Kernel info:
; codeLenInByte = 3840
; TotalNumSgprs: 63
; NumVgprs: 17
; NumAgprs: 0
; TotalNumVgprs: 17
; ScratchSize: 0
; MemoryBound: 0
; FloatMode: 240
; IeeeMode: 1
; LDSByteSize: 0 bytes/workgroup (compile time only)
; SGPRBlocks: 7
; VGPRBlocks: 2
; NumSGPRsForWavesPerEU: 63
; NumVGPRsForWavesPerEU: 17
; AccumOffset: 20
; Occupancy: 8
; WaveLimiterHint : 0
; COMPUTE_PGM_RSRC2:SCRATCH_EN: 0
; COMPUTE_PGM_RSRC2:USER_SGPR: 2
; COMPUTE_PGM_RSRC2:TRAP_HANDLER: 0
; COMPUTE_PGM_RSRC2:TGID_X_EN: 1
; COMPUTE_PGM_RSRC2:TGID_Y_EN: 1
; COMPUTE_PGM_RSRC2:TGID_Z_EN: 1
; COMPUTE_PGM_RSRC2:TIDIG_COMP_CNT: 0
; COMPUTE_PGM_RSRC3_GFX90A:ACCUM_OFFSET: 4
; COMPUTE_PGM_RSRC3_GFX90A:TG_SPLIT: 0
	.section	.AMDGPU.gpr_maximums,"",@progbits
	.set amdgpu.max_num_vgpr, 0
	.set amdgpu.max_num_agpr, 0
	.set amdgpu.max_num_sgpr, 0
	.section	.AMDGPU.csdata,"",@progbits
	.type	__hip_cuid_e5e7b092e470252e,@object ; @__hip_cuid_e5e7b092e470252e
	.section	.bss,"aw",@nobits
	.globl	__hip_cuid_e5e7b092e470252e
__hip_cuid_e5e7b092e470252e:
	.byte	0                               ; 0x0
	.size	__hip_cuid_e5e7b092e470252e, 1

	.ident	"AMD clang version 22.0.0git (https://github.com/RadeonOpenCompute/llvm-project roc-7.2.4 26084 f58b06dce1f9c15707c5f808fd002e18c2accf7e)"
	.section	".note.GNU-stack","",@progbits
	.addrsig
	.addrsig_sym __hip_cuid_e5e7b092e470252e
	.amdgpu_metadata
---
amdhsa.kernels:
  - .agpr_count:     0
    .args:
      - .address_space:  global
        .offset:         0
        .size:           8
        .value_kind:     global_buffer
      - .address_space:  global
        .offset:         8
        .size:           8
        .value_kind:     global_buffer
      - .offset:         16
        .size:           8
        .value_kind:     by_value
      - .offset:         24
        .size:           8
        .value_kind:     by_value
      - .offset:         32
        .size:           4
        .value_kind:     by_value
      - .offset:         36
        .size:           4
        .value_kind:     by_value
      - .offset:         40
        .size:           4
        .value_kind:     by_value
      - .offset:         44
        .size:           4
        .value_kind:     by_value
      - .offset:         48
        .size:           4
        .value_kind:     by_value
      - .offset:         52
        .size:           4
        .value_kind:     by_value
      - .offset:         56
        .size:           4
        .value_kind:     by_value
      - .offset:         64
        .size:           4
        .value_kind:     hidden_block_count_x
      - .offset:         68
        .size:           4
        .value_kind:     hidden_block_count_y
      - .offset:         72
        .size:           4
        .value_kind:     hidden_block_count_z
      - .offset:         76
        .size:           2
        .value_kind:     hidden_group_size_x
      - .offset:         78
        .size:           2
        .value_kind:     hidden_group_size_y
      - .offset:         80
        .size:           2
        .value_kind:     hidden_group_size_z
      - .offset:         82
        .size:           2
        .value_kind:     hidden_remainder_x
      - .offset:         84
        .size:           2
        .value_kind:     hidden_remainder_y
      - .offset:         86
        .size:           2
        .value_kind:     hidden_remainder_z
      - .offset:         104
        .size:           8
        .value_kind:     hidden_global_offset_x
      - .offset:         112
        .size:           8
        .value_kind:     hidden_global_offset_y
      - .offset:         120
        .size:           8
        .value_kind:     hidden_global_offset_z
      - .offset:         128
        .size:           2
        .value_kind:     hidden_grid_dims
    .group_segment_fixed_size: 0
    .kernarg_segment_align: 8
    .kernarg_segment_size: 320
    .language:       OpenCL C
    .language_version:
      - 2
      - 0
    .max_flat_workgroup_size: 1024
    .name:           _ZN2at6native12_GLOBAL__N_127reflection_pad2d_out_kernelIhEEvPKT_PS3_lliiiiiii
    .private_segment_fixed_size: 0
    .sgpr_count:     47
    .sgpr_spill_count: 0
    .symbol:         _ZN2at6native12_GLOBAL__N_127reflection_pad2d_out_kernelIhEEvPKT_PS3_lliiiiiii.kd
    .uniform_work_group_size: 1
    .uses_dynamic_stack: false
    .vgpr_count:     13
    .vgpr_spill_count: 0
    .wavefront_size: 64
  - .agpr_count:     0
    .args:
      - .address_space:  global
        .offset:         0
        .size:           8
        .value_kind:     global_buffer
      - .address_space:  global
        .offset:         8
        .size:           8
        .value_kind:     global_buffer
      - .offset:         16
        .size:           8
        .value_kind:     by_value
      - .offset:         24
        .size:           8
        .value_kind:     by_value
      - .offset:         32
        .size:           4
        .value_kind:     by_value
      - .offset:         36
        .size:           4
        .value_kind:     by_value
      - .offset:         40
        .size:           4
        .value_kind:     by_value
      - .offset:         44
        .size:           4
        .value_kind:     by_value
      - .offset:         48
        .size:           4
        .value_kind:     by_value
      - .offset:         52
        .size:           4
        .value_kind:     by_value
      - .offset:         56
        .size:           4
        .value_kind:     by_value
      - .offset:         64
        .size:           4
        .value_kind:     hidden_block_count_x
      - .offset:         68
        .size:           4
        .value_kind:     hidden_block_count_y
      - .offset:         72
        .size:           4
        .value_kind:     hidden_block_count_z
      - .offset:         76
        .size:           2
        .value_kind:     hidden_group_size_x
      - .offset:         78
        .size:           2
        .value_kind:     hidden_group_size_y
      - .offset:         80
        .size:           2
        .value_kind:     hidden_group_size_z
      - .offset:         82
        .size:           2
        .value_kind:     hidden_remainder_x
      - .offset:         84
        .size:           2
        .value_kind:     hidden_remainder_y
      - .offset:         86
        .size:           2
        .value_kind:     hidden_remainder_z
      - .offset:         104
        .size:           8
        .value_kind:     hidden_global_offset_x
      - .offset:         112
        .size:           8
        .value_kind:     hidden_global_offset_y
      - .offset:         120
        .size:           8
        .value_kind:     hidden_global_offset_z
      - .offset:         128
        .size:           2
        .value_kind:     hidden_grid_dims
    .group_segment_fixed_size: 0
    .kernarg_segment_align: 8
    .kernarg_segment_size: 320
    .language:       OpenCL C
    .language_version:
      - 2
      - 0
    .max_flat_workgroup_size: 1024
    .name:           _ZN2at6native12_GLOBAL__N_127reflection_pad2d_out_kernelIaEEvPKT_PS3_lliiiiiii
    .private_segment_fixed_size: 0
    .sgpr_count:     47
    .sgpr_spill_count: 0
    .symbol:         _ZN2at6native12_GLOBAL__N_127reflection_pad2d_out_kernelIaEEvPKT_PS3_lliiiiiii.kd
    .uniform_work_group_size: 1
    .uses_dynamic_stack: false
    .vgpr_count:     13
    .vgpr_spill_count: 0
    .wavefront_size: 64
  - .agpr_count:     0
    .args:
      - .address_space:  global
        .offset:         0
        .size:           8
        .value_kind:     global_buffer
      - .address_space:  global
        .offset:         8
        .size:           8
        .value_kind:     global_buffer
      - .offset:         16
        .size:           8
        .value_kind:     by_value
      - .offset:         24
        .size:           8
        .value_kind:     by_value
      - .offset:         32
        .size:           4
        .value_kind:     by_value
      - .offset:         36
        .size:           4
        .value_kind:     by_value
      - .offset:         40
        .size:           4
        .value_kind:     by_value
      - .offset:         44
        .size:           4
        .value_kind:     by_value
      - .offset:         48
        .size:           4
        .value_kind:     by_value
      - .offset:         52
        .size:           4
        .value_kind:     by_value
      - .offset:         56
        .size:           4
        .value_kind:     by_value
      - .offset:         64
        .size:           4
        .value_kind:     hidden_block_count_x
      - .offset:         68
        .size:           4
        .value_kind:     hidden_block_count_y
      - .offset:         72
        .size:           4
        .value_kind:     hidden_block_count_z
      - .offset:         76
        .size:           2
        .value_kind:     hidden_group_size_x
      - .offset:         78
        .size:           2
        .value_kind:     hidden_group_size_y
      - .offset:         80
        .size:           2
        .value_kind:     hidden_group_size_z
      - .offset:         82
        .size:           2
        .value_kind:     hidden_remainder_x
      - .offset:         84
        .size:           2
        .value_kind:     hidden_remainder_y
      - .offset:         86
        .size:           2
        .value_kind:     hidden_remainder_z
      - .offset:         104
        .size:           8
        .value_kind:     hidden_global_offset_x
      - .offset:         112
        .size:           8
        .value_kind:     hidden_global_offset_y
      - .offset:         120
        .size:           8
        .value_kind:     hidden_global_offset_z
      - .offset:         128
        .size:           2
        .value_kind:     hidden_grid_dims
    .group_segment_fixed_size: 0
    .kernarg_segment_align: 8
    .kernarg_segment_size: 320
    .language:       OpenCL C
    .language_version:
      - 2
      - 0
    .max_flat_workgroup_size: 1024
    .name:           _ZN2at6native12_GLOBAL__N_127reflection_pad2d_out_kernelIiEEvPKT_PS3_lliiiiiii
    .private_segment_fixed_size: 0
    .sgpr_count:     47
    .sgpr_spill_count: 0
    .symbol:         _ZN2at6native12_GLOBAL__N_127reflection_pad2d_out_kernelIiEEvPKT_PS3_lliiiiiii.kd
    .uniform_work_group_size: 1
    .uses_dynamic_stack: false
    .vgpr_count:     15
    .vgpr_spill_count: 0
    .wavefront_size: 64
  - .agpr_count:     0
    .args:
      - .address_space:  global
        .offset:         0
        .size:           8
        .value_kind:     global_buffer
      - .address_space:  global
        .offset:         8
        .size:           8
        .value_kind:     global_buffer
      - .offset:         16
        .size:           8
        .value_kind:     by_value
      - .offset:         24
        .size:           8
        .value_kind:     by_value
      - .offset:         32
        .size:           4
        .value_kind:     by_value
      - .offset:         36
        .size:           4
        .value_kind:     by_value
      - .offset:         40
        .size:           4
        .value_kind:     by_value
      - .offset:         44
        .size:           4
        .value_kind:     by_value
      - .offset:         48
        .size:           4
        .value_kind:     by_value
      - .offset:         52
        .size:           4
        .value_kind:     by_value
      - .offset:         56
        .size:           4
        .value_kind:     by_value
      - .offset:         64
        .size:           4
        .value_kind:     hidden_block_count_x
      - .offset:         68
        .size:           4
        .value_kind:     hidden_block_count_y
      - .offset:         72
        .size:           4
        .value_kind:     hidden_block_count_z
      - .offset:         76
        .size:           2
        .value_kind:     hidden_group_size_x
      - .offset:         78
        .size:           2
        .value_kind:     hidden_group_size_y
      - .offset:         80
        .size:           2
        .value_kind:     hidden_group_size_z
      - .offset:         82
        .size:           2
        .value_kind:     hidden_remainder_x
      - .offset:         84
        .size:           2
        .value_kind:     hidden_remainder_y
      - .offset:         86
        .size:           2
        .value_kind:     hidden_remainder_z
      - .offset:         104
        .size:           8
        .value_kind:     hidden_global_offset_x
      - .offset:         112
        .size:           8
        .value_kind:     hidden_global_offset_y
      - .offset:         120
        .size:           8
        .value_kind:     hidden_global_offset_z
      - .offset:         128
        .size:           2
        .value_kind:     hidden_grid_dims
    .group_segment_fixed_size: 0
    .kernarg_segment_align: 8
    .kernarg_segment_size: 320
    .language:       OpenCL C
    .language_version:
      - 2
      - 0
    .max_flat_workgroup_size: 1024
    .name:           _ZN2at6native12_GLOBAL__N_127reflection_pad2d_out_kernelIlEEvPKT_PS3_lliiiiiii
    .private_segment_fixed_size: 0
    .sgpr_count:     47
    .sgpr_spill_count: 0
    .symbol:         _ZN2at6native12_GLOBAL__N_127reflection_pad2d_out_kernelIlEEvPKT_PS3_lliiiiiii.kd
    .uniform_work_group_size: 1
    .uses_dynamic_stack: false
    .vgpr_count:     15
    .vgpr_spill_count: 0
    .wavefront_size: 64
  - .agpr_count:     0
    .args:
      - .address_space:  global
        .offset:         0
        .size:           8
        .value_kind:     global_buffer
      - .address_space:  global
        .offset:         8
        .size:           8
        .value_kind:     global_buffer
      - .offset:         16
        .size:           8
        .value_kind:     by_value
      - .offset:         24
        .size:           8
        .value_kind:     by_value
      - .offset:         32
        .size:           4
        .value_kind:     by_value
      - .offset:         36
        .size:           4
        .value_kind:     by_value
      - .offset:         40
        .size:           4
        .value_kind:     by_value
      - .offset:         44
        .size:           4
        .value_kind:     by_value
      - .offset:         48
        .size:           4
        .value_kind:     by_value
      - .offset:         52
        .size:           4
        .value_kind:     by_value
      - .offset:         56
        .size:           4
        .value_kind:     by_value
      - .offset:         64
        .size:           4
        .value_kind:     hidden_block_count_x
      - .offset:         68
        .size:           4
        .value_kind:     hidden_block_count_y
      - .offset:         72
        .size:           4
        .value_kind:     hidden_block_count_z
      - .offset:         76
        .size:           2
        .value_kind:     hidden_group_size_x
      - .offset:         78
        .size:           2
        .value_kind:     hidden_group_size_y
      - .offset:         80
        .size:           2
        .value_kind:     hidden_group_size_z
      - .offset:         82
        .size:           2
        .value_kind:     hidden_remainder_x
      - .offset:         84
        .size:           2
        .value_kind:     hidden_remainder_y
      - .offset:         86
        .size:           2
        .value_kind:     hidden_remainder_z
      - .offset:         104
        .size:           8
        .value_kind:     hidden_global_offset_x
      - .offset:         112
        .size:           8
        .value_kind:     hidden_global_offset_y
      - .offset:         120
        .size:           8
        .value_kind:     hidden_global_offset_z
      - .offset:         128
        .size:           2
        .value_kind:     hidden_grid_dims
    .group_segment_fixed_size: 0
    .kernarg_segment_align: 8
    .kernarg_segment_size: 320
    .language:       OpenCL C
    .language_version:
      - 2
      - 0
    .max_flat_workgroup_size: 1024
    .name:           _ZN2at6native12_GLOBAL__N_127reflection_pad2d_out_kernelIsEEvPKT_PS3_lliiiiiii
    .private_segment_fixed_size: 0
    .sgpr_count:     47
    .sgpr_spill_count: 0
    .symbol:         _ZN2at6native12_GLOBAL__N_127reflection_pad2d_out_kernelIsEEvPKT_PS3_lliiiiiii.kd
    .uniform_work_group_size: 1
    .uses_dynamic_stack: false
    .vgpr_count:     15
    .vgpr_spill_count: 0
    .wavefront_size: 64
  - .agpr_count:     0
    .args:
      - .address_space:  global
        .offset:         0
        .size:           8
        .value_kind:     global_buffer
      - .address_space:  global
        .offset:         8
        .size:           8
        .value_kind:     global_buffer
      - .offset:         16
        .size:           8
        .value_kind:     by_value
      - .offset:         24
        .size:           8
        .value_kind:     by_value
      - .offset:         32
        .size:           4
        .value_kind:     by_value
      - .offset:         36
        .size:           4
        .value_kind:     by_value
      - .offset:         40
        .size:           4
        .value_kind:     by_value
      - .offset:         44
        .size:           4
        .value_kind:     by_value
      - .offset:         48
        .size:           4
        .value_kind:     by_value
      - .offset:         52
        .size:           4
        .value_kind:     by_value
      - .offset:         56
        .size:           4
        .value_kind:     by_value
      - .offset:         64
        .size:           4
        .value_kind:     hidden_block_count_x
      - .offset:         68
        .size:           4
        .value_kind:     hidden_block_count_y
      - .offset:         72
        .size:           4
        .value_kind:     hidden_block_count_z
      - .offset:         76
        .size:           2
        .value_kind:     hidden_group_size_x
      - .offset:         78
        .size:           2
        .value_kind:     hidden_group_size_y
      - .offset:         80
        .size:           2
        .value_kind:     hidden_group_size_z
      - .offset:         82
        .size:           2
        .value_kind:     hidden_remainder_x
      - .offset:         84
        .size:           2
        .value_kind:     hidden_remainder_y
      - .offset:         86
        .size:           2
        .value_kind:     hidden_remainder_z
      - .offset:         104
        .size:           8
        .value_kind:     hidden_global_offset_x
      - .offset:         112
        .size:           8
        .value_kind:     hidden_global_offset_y
      - .offset:         120
        .size:           8
        .value_kind:     hidden_global_offset_z
      - .offset:         128
        .size:           2
        .value_kind:     hidden_grid_dims
    .group_segment_fixed_size: 0
    .kernarg_segment_align: 8
    .kernarg_segment_size: 320
    .language:       OpenCL C
    .language_version:
      - 2
      - 0
    .max_flat_workgroup_size: 1024
    .name:           _ZN2at6native12_GLOBAL__N_127reflection_pad2d_out_kernelIdEEvPKT_PS3_lliiiiiii
    .private_segment_fixed_size: 0
    .sgpr_count:     47
    .sgpr_spill_count: 0
    .symbol:         _ZN2at6native12_GLOBAL__N_127reflection_pad2d_out_kernelIdEEvPKT_PS3_lliiiiiii.kd
    .uniform_work_group_size: 1
    .uses_dynamic_stack: false
    .vgpr_count:     15
    .vgpr_spill_count: 0
    .wavefront_size: 64
  - .agpr_count:     0
    .args:
      - .address_space:  global
        .offset:         0
        .size:           8
        .value_kind:     global_buffer
      - .address_space:  global
        .offset:         8
        .size:           8
        .value_kind:     global_buffer
      - .offset:         16
        .size:           8
        .value_kind:     by_value
      - .offset:         24
        .size:           8
        .value_kind:     by_value
      - .offset:         32
        .size:           4
        .value_kind:     by_value
      - .offset:         36
        .size:           4
        .value_kind:     by_value
      - .offset:         40
        .size:           4
        .value_kind:     by_value
      - .offset:         44
        .size:           4
        .value_kind:     by_value
      - .offset:         48
        .size:           4
        .value_kind:     by_value
      - .offset:         52
        .size:           4
        .value_kind:     by_value
      - .offset:         56
        .size:           4
        .value_kind:     by_value
      - .offset:         64
        .size:           4
        .value_kind:     hidden_block_count_x
      - .offset:         68
        .size:           4
        .value_kind:     hidden_block_count_y
      - .offset:         72
        .size:           4
        .value_kind:     hidden_block_count_z
      - .offset:         76
        .size:           2
        .value_kind:     hidden_group_size_x
      - .offset:         78
        .size:           2
        .value_kind:     hidden_group_size_y
      - .offset:         80
        .size:           2
        .value_kind:     hidden_group_size_z
      - .offset:         82
        .size:           2
        .value_kind:     hidden_remainder_x
      - .offset:         84
        .size:           2
        .value_kind:     hidden_remainder_y
      - .offset:         86
        .size:           2
        .value_kind:     hidden_remainder_z
      - .offset:         104
        .size:           8
        .value_kind:     hidden_global_offset_x
      - .offset:         112
        .size:           8
        .value_kind:     hidden_global_offset_y
      - .offset:         120
        .size:           8
        .value_kind:     hidden_global_offset_z
      - .offset:         128
        .size:           2
        .value_kind:     hidden_grid_dims
    .group_segment_fixed_size: 0
    .kernarg_segment_align: 8
    .kernarg_segment_size: 320
    .language:       OpenCL C
    .language_version:
      - 2
      - 0
    .max_flat_workgroup_size: 1024
    .name:           _ZN2at6native12_GLOBAL__N_127reflection_pad2d_out_kernelIfEEvPKT_PS3_lliiiiiii
    .private_segment_fixed_size: 0
    .sgpr_count:     47
    .sgpr_spill_count: 0
    .symbol:         _ZN2at6native12_GLOBAL__N_127reflection_pad2d_out_kernelIfEEvPKT_PS3_lliiiiiii.kd
    .uniform_work_group_size: 1
    .uses_dynamic_stack: false
    .vgpr_count:     15
    .vgpr_spill_count: 0
    .wavefront_size: 64
  - .agpr_count:     0
    .args:
      - .address_space:  global
        .offset:         0
        .size:           8
        .value_kind:     global_buffer
      - .address_space:  global
        .offset:         8
        .size:           8
        .value_kind:     global_buffer
      - .offset:         16
        .size:           8
        .value_kind:     by_value
      - .offset:         24
        .size:           8
        .value_kind:     by_value
      - .offset:         32
        .size:           4
        .value_kind:     by_value
      - .offset:         36
        .size:           4
        .value_kind:     by_value
      - .offset:         40
        .size:           4
        .value_kind:     by_value
      - .offset:         44
        .size:           4
        .value_kind:     by_value
      - .offset:         48
        .size:           4
        .value_kind:     by_value
      - .offset:         52
        .size:           4
        .value_kind:     by_value
      - .offset:         56
        .size:           4
        .value_kind:     by_value
      - .offset:         64
        .size:           4
        .value_kind:     hidden_block_count_x
      - .offset:         68
        .size:           4
        .value_kind:     hidden_block_count_y
      - .offset:         72
        .size:           4
        .value_kind:     hidden_block_count_z
      - .offset:         76
        .size:           2
        .value_kind:     hidden_group_size_x
      - .offset:         78
        .size:           2
        .value_kind:     hidden_group_size_y
      - .offset:         80
        .size:           2
        .value_kind:     hidden_group_size_z
      - .offset:         82
        .size:           2
        .value_kind:     hidden_remainder_x
      - .offset:         84
        .size:           2
        .value_kind:     hidden_remainder_y
      - .offset:         86
        .size:           2
        .value_kind:     hidden_remainder_z
      - .offset:         104
        .size:           8
        .value_kind:     hidden_global_offset_x
      - .offset:         112
        .size:           8
        .value_kind:     hidden_global_offset_y
      - .offset:         120
        .size:           8
        .value_kind:     hidden_global_offset_z
      - .offset:         128
        .size:           2
        .value_kind:     hidden_grid_dims
    .group_segment_fixed_size: 0
    .kernarg_segment_align: 8
    .kernarg_segment_size: 320
    .language:       OpenCL C
    .language_version:
      - 2
      - 0
    .max_flat_workgroup_size: 1024
    .name:           _ZN2at6native12_GLOBAL__N_127reflection_pad2d_out_kernelIN3c107complexIdEEEEvPKT_PS6_lliiiiiii
    .private_segment_fixed_size: 0
    .sgpr_count:     47
    .sgpr_spill_count: 0
    .symbol:         _ZN2at6native12_GLOBAL__N_127reflection_pad2d_out_kernelIN3c107complexIdEEEEvPKT_PS6_lliiiiiii.kd
    .uniform_work_group_size: 1
    .uses_dynamic_stack: false
    .vgpr_count:     15
    .vgpr_spill_count: 0
    .wavefront_size: 64
  - .agpr_count:     0
    .args:
      - .address_space:  global
        .offset:         0
        .size:           8
        .value_kind:     global_buffer
      - .address_space:  global
        .offset:         8
        .size:           8
        .value_kind:     global_buffer
      - .offset:         16
        .size:           8
        .value_kind:     by_value
      - .offset:         24
        .size:           8
        .value_kind:     by_value
      - .offset:         32
        .size:           4
        .value_kind:     by_value
      - .offset:         36
        .size:           4
        .value_kind:     by_value
      - .offset:         40
        .size:           4
        .value_kind:     by_value
      - .offset:         44
        .size:           4
        .value_kind:     by_value
      - .offset:         48
        .size:           4
        .value_kind:     by_value
      - .offset:         52
        .size:           4
        .value_kind:     by_value
      - .offset:         56
        .size:           4
        .value_kind:     by_value
      - .offset:         64
        .size:           4
        .value_kind:     hidden_block_count_x
      - .offset:         68
        .size:           4
        .value_kind:     hidden_block_count_y
      - .offset:         72
        .size:           4
        .value_kind:     hidden_block_count_z
      - .offset:         76
        .size:           2
        .value_kind:     hidden_group_size_x
      - .offset:         78
        .size:           2
        .value_kind:     hidden_group_size_y
      - .offset:         80
        .size:           2
        .value_kind:     hidden_group_size_z
      - .offset:         82
        .size:           2
        .value_kind:     hidden_remainder_x
      - .offset:         84
        .size:           2
        .value_kind:     hidden_remainder_y
      - .offset:         86
        .size:           2
        .value_kind:     hidden_remainder_z
      - .offset:         104
        .size:           8
        .value_kind:     hidden_global_offset_x
      - .offset:         112
        .size:           8
        .value_kind:     hidden_global_offset_y
      - .offset:         120
        .size:           8
        .value_kind:     hidden_global_offset_z
      - .offset:         128
        .size:           2
        .value_kind:     hidden_grid_dims
    .group_segment_fixed_size: 0
    .kernarg_segment_align: 8
    .kernarg_segment_size: 320
    .language:       OpenCL C
    .language_version:
      - 2
      - 0
    .max_flat_workgroup_size: 1024
    .name:           _ZN2at6native12_GLOBAL__N_127reflection_pad2d_out_kernelIN3c107complexIfEEEEvPKT_PS6_lliiiiiii
    .private_segment_fixed_size: 0
    .sgpr_count:     47
    .sgpr_spill_count: 0
    .symbol:         _ZN2at6native12_GLOBAL__N_127reflection_pad2d_out_kernelIN3c107complexIfEEEEvPKT_PS6_lliiiiiii.kd
    .uniform_work_group_size: 1
    .uses_dynamic_stack: false
    .vgpr_count:     15
    .vgpr_spill_count: 0
    .wavefront_size: 64
  - .agpr_count:     0
    .args:
      - .address_space:  global
        .offset:         0
        .size:           8
        .value_kind:     global_buffer
      - .address_space:  global
        .offset:         8
        .size:           8
        .value_kind:     global_buffer
      - .offset:         16
        .size:           8
        .value_kind:     by_value
      - .offset:         24
        .size:           8
        .value_kind:     by_value
      - .offset:         32
        .size:           4
        .value_kind:     by_value
      - .offset:         36
        .size:           4
        .value_kind:     by_value
      - .offset:         40
        .size:           4
        .value_kind:     by_value
      - .offset:         44
        .size:           4
        .value_kind:     by_value
      - .offset:         48
        .size:           4
        .value_kind:     by_value
      - .offset:         52
        .size:           4
        .value_kind:     by_value
      - .offset:         56
        .size:           4
        .value_kind:     by_value
      - .offset:         64
        .size:           4
        .value_kind:     hidden_block_count_x
      - .offset:         68
        .size:           4
        .value_kind:     hidden_block_count_y
      - .offset:         72
        .size:           4
        .value_kind:     hidden_block_count_z
      - .offset:         76
        .size:           2
        .value_kind:     hidden_group_size_x
      - .offset:         78
        .size:           2
        .value_kind:     hidden_group_size_y
      - .offset:         80
        .size:           2
        .value_kind:     hidden_group_size_z
      - .offset:         82
        .size:           2
        .value_kind:     hidden_remainder_x
      - .offset:         84
        .size:           2
        .value_kind:     hidden_remainder_y
      - .offset:         86
        .size:           2
        .value_kind:     hidden_remainder_z
      - .offset:         104
        .size:           8
        .value_kind:     hidden_global_offset_x
      - .offset:         112
        .size:           8
        .value_kind:     hidden_global_offset_y
      - .offset:         120
        .size:           8
        .value_kind:     hidden_global_offset_z
      - .offset:         128
        .size:           2
        .value_kind:     hidden_grid_dims
    .group_segment_fixed_size: 0
    .kernarg_segment_align: 8
    .kernarg_segment_size: 320
    .language:       OpenCL C
    .language_version:
      - 2
      - 0
    .max_flat_workgroup_size: 1024
    .name:           _ZN2at6native12_GLOBAL__N_127reflection_pad2d_out_kernelIN3c104HalfEEEvPKT_PS5_lliiiiiii
    .private_segment_fixed_size: 0
    .sgpr_count:     47
    .sgpr_spill_count: 0
    .symbol:         _ZN2at6native12_GLOBAL__N_127reflection_pad2d_out_kernelIN3c104HalfEEEvPKT_PS5_lliiiiiii.kd
    .uniform_work_group_size: 1
    .uses_dynamic_stack: false
    .vgpr_count:     15
    .vgpr_spill_count: 0
    .wavefront_size: 64
  - .agpr_count:     0
    .args:
      - .address_space:  global
        .offset:         0
        .size:           8
        .value_kind:     global_buffer
      - .address_space:  global
        .offset:         8
        .size:           8
        .value_kind:     global_buffer
      - .offset:         16
        .size:           8
        .value_kind:     by_value
      - .offset:         24
        .size:           8
        .value_kind:     by_value
      - .offset:         32
        .size:           4
        .value_kind:     by_value
      - .offset:         36
        .size:           4
        .value_kind:     by_value
      - .offset:         40
        .size:           4
        .value_kind:     by_value
      - .offset:         44
        .size:           4
        .value_kind:     by_value
      - .offset:         48
        .size:           4
        .value_kind:     by_value
      - .offset:         52
        .size:           4
        .value_kind:     by_value
      - .offset:         56
        .size:           4
        .value_kind:     by_value
      - .offset:         64
        .size:           4
        .value_kind:     hidden_block_count_x
      - .offset:         68
        .size:           4
        .value_kind:     hidden_block_count_y
      - .offset:         72
        .size:           4
        .value_kind:     hidden_block_count_z
      - .offset:         76
        .size:           2
        .value_kind:     hidden_group_size_x
      - .offset:         78
        .size:           2
        .value_kind:     hidden_group_size_y
      - .offset:         80
        .size:           2
        .value_kind:     hidden_group_size_z
      - .offset:         82
        .size:           2
        .value_kind:     hidden_remainder_x
      - .offset:         84
        .size:           2
        .value_kind:     hidden_remainder_y
      - .offset:         86
        .size:           2
        .value_kind:     hidden_remainder_z
      - .offset:         104
        .size:           8
        .value_kind:     hidden_global_offset_x
      - .offset:         112
        .size:           8
        .value_kind:     hidden_global_offset_y
      - .offset:         120
        .size:           8
        .value_kind:     hidden_global_offset_z
      - .offset:         128
        .size:           2
        .value_kind:     hidden_grid_dims
    .group_segment_fixed_size: 0
    .kernarg_segment_align: 8
    .kernarg_segment_size: 320
    .language:       OpenCL C
    .language_version:
      - 2
      - 0
    .max_flat_workgroup_size: 1024
    .name:           _ZN2at6native12_GLOBAL__N_127reflection_pad2d_out_kernelIN3c108BFloat16EEEvPKT_PS5_lliiiiiii
    .private_segment_fixed_size: 0
    .sgpr_count:     47
    .sgpr_spill_count: 0
    .symbol:         _ZN2at6native12_GLOBAL__N_127reflection_pad2d_out_kernelIN3c108BFloat16EEEvPKT_PS5_lliiiiiii.kd
    .uniform_work_group_size: 1
    .uses_dynamic_stack: false
    .vgpr_count:     15
    .vgpr_spill_count: 0
    .wavefront_size: 64
  - .agpr_count:     0
    .args:
      - .address_space:  global
        .offset:         0
        .size:           8
        .value_kind:     global_buffer
      - .address_space:  global
        .offset:         8
        .size:           8
        .value_kind:     global_buffer
      - .offset:         16
        .size:           8
        .value_kind:     by_value
      - .offset:         24
        .size:           8
        .value_kind:     by_value
      - .offset:         32
        .size:           4
        .value_kind:     by_value
      - .offset:         36
        .size:           4
        .value_kind:     by_value
      - .offset:         40
        .size:           4
        .value_kind:     by_value
      - .offset:         44
        .size:           4
        .value_kind:     by_value
      - .offset:         48
        .size:           4
        .value_kind:     by_value
      - .offset:         52
        .size:           4
        .value_kind:     by_value
      - .offset:         56
        .size:           4
        .value_kind:     by_value
      - .offset:         64
        .size:           4
        .value_kind:     hidden_block_count_x
      - .offset:         68
        .size:           4
        .value_kind:     hidden_block_count_y
      - .offset:         72
        .size:           4
        .value_kind:     hidden_block_count_z
      - .offset:         76
        .size:           2
        .value_kind:     hidden_group_size_x
      - .offset:         78
        .size:           2
        .value_kind:     hidden_group_size_y
      - .offset:         80
        .size:           2
        .value_kind:     hidden_group_size_z
      - .offset:         82
        .size:           2
        .value_kind:     hidden_remainder_x
      - .offset:         84
        .size:           2
        .value_kind:     hidden_remainder_y
      - .offset:         86
        .size:           2
        .value_kind:     hidden_remainder_z
      - .offset:         104
        .size:           8
        .value_kind:     hidden_global_offset_x
      - .offset:         112
        .size:           8
        .value_kind:     hidden_global_offset_y
      - .offset:         120
        .size:           8
        .value_kind:     hidden_global_offset_z
      - .offset:         128
        .size:           2
        .value_kind:     hidden_grid_dims
    .group_segment_fixed_size: 0
    .kernarg_segment_align: 8
    .kernarg_segment_size: 320
    .language:       OpenCL C
    .language_version:
      - 2
      - 0
    .max_flat_workgroup_size: 1024
    .name:           _ZN2at6native12_GLOBAL__N_140reflection_pad2d_backward_det_out_kernelIdEEvPT_PKS3_lliiiiiii
    .private_segment_fixed_size: 0
    .sgpr_count:     78
    .sgpr_spill_count: 0
    .symbol:         _ZN2at6native12_GLOBAL__N_140reflection_pad2d_backward_det_out_kernelIdEEvPT_PKS3_lliiiiiii.kd
    .uniform_work_group_size: 1
    .uses_dynamic_stack: false
    .vgpr_count:     35
    .vgpr_spill_count: 0
    .wavefront_size: 64
  - .agpr_count:     0
    .args:
      - .address_space:  global
        .offset:         0
        .size:           8
        .value_kind:     global_buffer
      - .address_space:  global
        .offset:         8
        .size:           8
        .value_kind:     global_buffer
      - .offset:         16
        .size:           8
        .value_kind:     by_value
      - .offset:         24
        .size:           8
        .value_kind:     by_value
      - .offset:         32
        .size:           4
        .value_kind:     by_value
      - .offset:         36
        .size:           4
        .value_kind:     by_value
      - .offset:         40
        .size:           4
        .value_kind:     by_value
      - .offset:         44
        .size:           4
        .value_kind:     by_value
      - .offset:         48
        .size:           4
        .value_kind:     by_value
      - .offset:         52
        .size:           4
        .value_kind:     by_value
      - .offset:         56
        .size:           4
        .value_kind:     by_value
      - .offset:         64
        .size:           4
        .value_kind:     hidden_block_count_x
      - .offset:         68
        .size:           4
        .value_kind:     hidden_block_count_y
      - .offset:         72
        .size:           4
        .value_kind:     hidden_block_count_z
      - .offset:         76
        .size:           2
        .value_kind:     hidden_group_size_x
      - .offset:         78
        .size:           2
        .value_kind:     hidden_group_size_y
      - .offset:         80
        .size:           2
        .value_kind:     hidden_group_size_z
      - .offset:         82
        .size:           2
        .value_kind:     hidden_remainder_x
      - .offset:         84
        .size:           2
        .value_kind:     hidden_remainder_y
      - .offset:         86
        .size:           2
        .value_kind:     hidden_remainder_z
      - .offset:         104
        .size:           8
        .value_kind:     hidden_global_offset_x
      - .offset:         112
        .size:           8
        .value_kind:     hidden_global_offset_y
      - .offset:         120
        .size:           8
        .value_kind:     hidden_global_offset_z
      - .offset:         128
        .size:           2
        .value_kind:     hidden_grid_dims
    .group_segment_fixed_size: 0
    .kernarg_segment_align: 8
    .kernarg_segment_size: 320
    .language:       OpenCL C
    .language_version:
      - 2
      - 0
    .max_flat_workgroup_size: 1024
    .name:           _ZN2at6native12_GLOBAL__N_136reflection_pad2d_backward_out_kernelIdEEvPT_PKS3_lliiiiiii
    .private_segment_fixed_size: 0
    .sgpr_count:     47
    .sgpr_spill_count: 0
    .symbol:         _ZN2at6native12_GLOBAL__N_136reflection_pad2d_backward_out_kernelIdEEvPT_PKS3_lliiiiiii.kd
    .uniform_work_group_size: 1
    .uses_dynamic_stack: false
    .vgpr_count:     17
    .vgpr_spill_count: 0
    .wavefront_size: 64
  - .agpr_count:     0
    .args:
      - .address_space:  global
        .offset:         0
        .size:           8
        .value_kind:     global_buffer
      - .address_space:  global
        .offset:         8
        .size:           8
        .value_kind:     global_buffer
      - .offset:         16
        .size:           8
        .value_kind:     by_value
      - .offset:         24
        .size:           8
        .value_kind:     by_value
      - .offset:         32
        .size:           4
        .value_kind:     by_value
      - .offset:         36
        .size:           4
        .value_kind:     by_value
      - .offset:         40
        .size:           4
        .value_kind:     by_value
      - .offset:         44
        .size:           4
        .value_kind:     by_value
      - .offset:         48
        .size:           4
        .value_kind:     by_value
      - .offset:         52
        .size:           4
        .value_kind:     by_value
      - .offset:         56
        .size:           4
        .value_kind:     by_value
      - .offset:         64
        .size:           4
        .value_kind:     hidden_block_count_x
      - .offset:         68
        .size:           4
        .value_kind:     hidden_block_count_y
      - .offset:         72
        .size:           4
        .value_kind:     hidden_block_count_z
      - .offset:         76
        .size:           2
        .value_kind:     hidden_group_size_x
      - .offset:         78
        .size:           2
        .value_kind:     hidden_group_size_y
      - .offset:         80
        .size:           2
        .value_kind:     hidden_group_size_z
      - .offset:         82
        .size:           2
        .value_kind:     hidden_remainder_x
      - .offset:         84
        .size:           2
        .value_kind:     hidden_remainder_y
      - .offset:         86
        .size:           2
        .value_kind:     hidden_remainder_z
      - .offset:         104
        .size:           8
        .value_kind:     hidden_global_offset_x
      - .offset:         112
        .size:           8
        .value_kind:     hidden_global_offset_y
      - .offset:         120
        .size:           8
        .value_kind:     hidden_global_offset_z
      - .offset:         128
        .size:           2
        .value_kind:     hidden_grid_dims
    .group_segment_fixed_size: 0
    .kernarg_segment_align: 8
    .kernarg_segment_size: 320
    .language:       OpenCL C
    .language_version:
      - 2
      - 0
    .max_flat_workgroup_size: 1024
    .name:           _ZN2at6native12_GLOBAL__N_140reflection_pad2d_backward_det_out_kernelIfEEvPT_PKS3_lliiiiiii
    .private_segment_fixed_size: 0
    .sgpr_count:     78
    .sgpr_spill_count: 0
    .symbol:         _ZN2at6native12_GLOBAL__N_140reflection_pad2d_backward_det_out_kernelIfEEvPT_PKS3_lliiiiiii.kd
    .uniform_work_group_size: 1
    .uses_dynamic_stack: false
    .vgpr_count:     36
    .vgpr_spill_count: 0
    .wavefront_size: 64
  - .agpr_count:     0
    .args:
      - .address_space:  global
        .offset:         0
        .size:           8
        .value_kind:     global_buffer
      - .address_space:  global
        .offset:         8
        .size:           8
        .value_kind:     global_buffer
      - .offset:         16
        .size:           8
        .value_kind:     by_value
      - .offset:         24
        .size:           8
        .value_kind:     by_value
      - .offset:         32
        .size:           4
        .value_kind:     by_value
      - .offset:         36
        .size:           4
        .value_kind:     by_value
      - .offset:         40
        .size:           4
        .value_kind:     by_value
      - .offset:         44
        .size:           4
        .value_kind:     by_value
      - .offset:         48
        .size:           4
        .value_kind:     by_value
      - .offset:         52
        .size:           4
        .value_kind:     by_value
      - .offset:         56
        .size:           4
        .value_kind:     by_value
      - .offset:         64
        .size:           4
        .value_kind:     hidden_block_count_x
      - .offset:         68
        .size:           4
        .value_kind:     hidden_block_count_y
      - .offset:         72
        .size:           4
        .value_kind:     hidden_block_count_z
      - .offset:         76
        .size:           2
        .value_kind:     hidden_group_size_x
      - .offset:         78
        .size:           2
        .value_kind:     hidden_group_size_y
      - .offset:         80
        .size:           2
        .value_kind:     hidden_group_size_z
      - .offset:         82
        .size:           2
        .value_kind:     hidden_remainder_x
      - .offset:         84
        .size:           2
        .value_kind:     hidden_remainder_y
      - .offset:         86
        .size:           2
        .value_kind:     hidden_remainder_z
      - .offset:         104
        .size:           8
        .value_kind:     hidden_global_offset_x
      - .offset:         112
        .size:           8
        .value_kind:     hidden_global_offset_y
      - .offset:         120
        .size:           8
        .value_kind:     hidden_global_offset_z
      - .offset:         128
        .size:           2
        .value_kind:     hidden_grid_dims
    .group_segment_fixed_size: 0
    .kernarg_segment_align: 8
    .kernarg_segment_size: 320
    .language:       OpenCL C
    .language_version:
      - 2
      - 0
    .max_flat_workgroup_size: 1024
    .name:           _ZN2at6native12_GLOBAL__N_136reflection_pad2d_backward_out_kernelIfEEvPT_PKS3_lliiiiiii
    .private_segment_fixed_size: 0
    .sgpr_count:     47
    .sgpr_spill_count: 0
    .symbol:         _ZN2at6native12_GLOBAL__N_136reflection_pad2d_backward_out_kernelIfEEvPT_PKS3_lliiiiiii.kd
    .uniform_work_group_size: 1
    .uses_dynamic_stack: false
    .vgpr_count:     16
    .vgpr_spill_count: 0
    .wavefront_size: 64
  - .agpr_count:     0
    .args:
      - .address_space:  global
        .offset:         0
        .size:           8
        .value_kind:     global_buffer
      - .address_space:  global
        .offset:         8
        .size:           8
        .value_kind:     global_buffer
      - .offset:         16
        .size:           8
        .value_kind:     by_value
      - .offset:         24
        .size:           8
        .value_kind:     by_value
      - .offset:         32
        .size:           4
        .value_kind:     by_value
      - .offset:         36
        .size:           4
        .value_kind:     by_value
      - .offset:         40
        .size:           4
        .value_kind:     by_value
      - .offset:         44
        .size:           4
        .value_kind:     by_value
      - .offset:         48
        .size:           4
        .value_kind:     by_value
      - .offset:         52
        .size:           4
        .value_kind:     by_value
      - .offset:         56
        .size:           4
        .value_kind:     by_value
      - .offset:         64
        .size:           4
        .value_kind:     hidden_block_count_x
      - .offset:         68
        .size:           4
        .value_kind:     hidden_block_count_y
      - .offset:         72
        .size:           4
        .value_kind:     hidden_block_count_z
      - .offset:         76
        .size:           2
        .value_kind:     hidden_group_size_x
      - .offset:         78
        .size:           2
        .value_kind:     hidden_group_size_y
      - .offset:         80
        .size:           2
        .value_kind:     hidden_group_size_z
      - .offset:         82
        .size:           2
        .value_kind:     hidden_remainder_x
      - .offset:         84
        .size:           2
        .value_kind:     hidden_remainder_y
      - .offset:         86
        .size:           2
        .value_kind:     hidden_remainder_z
      - .offset:         104
        .size:           8
        .value_kind:     hidden_global_offset_x
      - .offset:         112
        .size:           8
        .value_kind:     hidden_global_offset_y
      - .offset:         120
        .size:           8
        .value_kind:     hidden_global_offset_z
      - .offset:         128
        .size:           2
        .value_kind:     hidden_grid_dims
    .group_segment_fixed_size: 0
    .kernarg_segment_align: 8
    .kernarg_segment_size: 320
    .language:       OpenCL C
    .language_version:
      - 2
      - 0
    .max_flat_workgroup_size: 1024
    .name:           _ZN2at6native12_GLOBAL__N_140reflection_pad2d_backward_det_out_kernelIN3c107complexIdEEEEvPT_PKS6_lliiiiiii
    .private_segment_fixed_size: 0
    .sgpr_count:     78
    .sgpr_spill_count: 0
    .symbol:         _ZN2at6native12_GLOBAL__N_140reflection_pad2d_backward_det_out_kernelIN3c107complexIdEEEEvPT_PKS6_lliiiiiii.kd
    .uniform_work_group_size: 1
    .uses_dynamic_stack: false
    .vgpr_count:     38
    .vgpr_spill_count: 0
    .wavefront_size: 64
  - .agpr_count:     0
    .args:
      - .address_space:  global
        .offset:         0
        .size:           8
        .value_kind:     global_buffer
      - .address_space:  global
        .offset:         8
        .size:           8
        .value_kind:     global_buffer
      - .offset:         16
        .size:           8
        .value_kind:     by_value
      - .offset:         24
        .size:           8
        .value_kind:     by_value
      - .offset:         32
        .size:           4
        .value_kind:     by_value
      - .offset:         36
        .size:           4
        .value_kind:     by_value
      - .offset:         40
        .size:           4
        .value_kind:     by_value
      - .offset:         44
        .size:           4
        .value_kind:     by_value
      - .offset:         48
        .size:           4
        .value_kind:     by_value
      - .offset:         52
        .size:           4
        .value_kind:     by_value
      - .offset:         56
        .size:           4
        .value_kind:     by_value
      - .offset:         64
        .size:           4
        .value_kind:     hidden_block_count_x
      - .offset:         68
        .size:           4
        .value_kind:     hidden_block_count_y
      - .offset:         72
        .size:           4
        .value_kind:     hidden_block_count_z
      - .offset:         76
        .size:           2
        .value_kind:     hidden_group_size_x
      - .offset:         78
        .size:           2
        .value_kind:     hidden_group_size_y
      - .offset:         80
        .size:           2
        .value_kind:     hidden_group_size_z
      - .offset:         82
        .size:           2
        .value_kind:     hidden_remainder_x
      - .offset:         84
        .size:           2
        .value_kind:     hidden_remainder_y
      - .offset:         86
        .size:           2
        .value_kind:     hidden_remainder_z
      - .offset:         104
        .size:           8
        .value_kind:     hidden_global_offset_x
      - .offset:         112
        .size:           8
        .value_kind:     hidden_global_offset_y
      - .offset:         120
        .size:           8
        .value_kind:     hidden_global_offset_z
      - .offset:         128
        .size:           2
        .value_kind:     hidden_grid_dims
    .group_segment_fixed_size: 0
    .kernarg_segment_align: 8
    .kernarg_segment_size: 320
    .language:       OpenCL C
    .language_version:
      - 2
      - 0
    .max_flat_workgroup_size: 1024
    .name:           _ZN2at6native12_GLOBAL__N_136reflection_pad2d_backward_out_kernelIN3c107complexIdEEEEvPT_PKS6_lliiiiiii
    .private_segment_fixed_size: 0
    .sgpr_count:     47
    .sgpr_spill_count: 0
    .symbol:         _ZN2at6native12_GLOBAL__N_136reflection_pad2d_backward_out_kernelIN3c107complexIdEEEEvPT_PKS6_lliiiiiii.kd
    .uniform_work_group_size: 1
    .uses_dynamic_stack: false
    .vgpr_count:     19
    .vgpr_spill_count: 0
    .wavefront_size: 64
  - .agpr_count:     0
    .args:
      - .address_space:  global
        .offset:         0
        .size:           8
        .value_kind:     global_buffer
      - .address_space:  global
        .offset:         8
        .size:           8
        .value_kind:     global_buffer
      - .offset:         16
        .size:           8
        .value_kind:     by_value
      - .offset:         24
        .size:           8
        .value_kind:     by_value
      - .offset:         32
        .size:           4
        .value_kind:     by_value
      - .offset:         36
        .size:           4
        .value_kind:     by_value
      - .offset:         40
        .size:           4
        .value_kind:     by_value
      - .offset:         44
        .size:           4
        .value_kind:     by_value
      - .offset:         48
        .size:           4
        .value_kind:     by_value
      - .offset:         52
        .size:           4
        .value_kind:     by_value
      - .offset:         56
        .size:           4
        .value_kind:     by_value
      - .offset:         64
        .size:           4
        .value_kind:     hidden_block_count_x
      - .offset:         68
        .size:           4
        .value_kind:     hidden_block_count_y
      - .offset:         72
        .size:           4
        .value_kind:     hidden_block_count_z
      - .offset:         76
        .size:           2
        .value_kind:     hidden_group_size_x
      - .offset:         78
        .size:           2
        .value_kind:     hidden_group_size_y
      - .offset:         80
        .size:           2
        .value_kind:     hidden_group_size_z
      - .offset:         82
        .size:           2
        .value_kind:     hidden_remainder_x
      - .offset:         84
        .size:           2
        .value_kind:     hidden_remainder_y
      - .offset:         86
        .size:           2
        .value_kind:     hidden_remainder_z
      - .offset:         104
        .size:           8
        .value_kind:     hidden_global_offset_x
      - .offset:         112
        .size:           8
        .value_kind:     hidden_global_offset_y
      - .offset:         120
        .size:           8
        .value_kind:     hidden_global_offset_z
      - .offset:         128
        .size:           2
        .value_kind:     hidden_grid_dims
    .group_segment_fixed_size: 0
    .kernarg_segment_align: 8
    .kernarg_segment_size: 320
    .language:       OpenCL C
    .language_version:
      - 2
      - 0
    .max_flat_workgroup_size: 1024
    .name:           _ZN2at6native12_GLOBAL__N_140reflection_pad2d_backward_det_out_kernelIN3c107complexIfEEEEvPT_PKS6_lliiiiiii
    .private_segment_fixed_size: 0
    .sgpr_count:     78
    .sgpr_spill_count: 0
    .symbol:         _ZN2at6native12_GLOBAL__N_140reflection_pad2d_backward_det_out_kernelIN3c107complexIfEEEEvPT_PKS6_lliiiiiii.kd
    .uniform_work_group_size: 1
    .uses_dynamic_stack: false
    .vgpr_count:     36
    .vgpr_spill_count: 0
    .wavefront_size: 64
  - .agpr_count:     0
    .args:
      - .address_space:  global
        .offset:         0
        .size:           8
        .value_kind:     global_buffer
      - .address_space:  global
        .offset:         8
        .size:           8
        .value_kind:     global_buffer
      - .offset:         16
        .size:           8
        .value_kind:     by_value
      - .offset:         24
        .size:           8
        .value_kind:     by_value
      - .offset:         32
        .size:           4
        .value_kind:     by_value
      - .offset:         36
        .size:           4
        .value_kind:     by_value
      - .offset:         40
        .size:           4
        .value_kind:     by_value
      - .offset:         44
        .size:           4
        .value_kind:     by_value
      - .offset:         48
        .size:           4
        .value_kind:     by_value
      - .offset:         52
        .size:           4
        .value_kind:     by_value
      - .offset:         56
        .size:           4
        .value_kind:     by_value
      - .offset:         64
        .size:           4
        .value_kind:     hidden_block_count_x
      - .offset:         68
        .size:           4
        .value_kind:     hidden_block_count_y
      - .offset:         72
        .size:           4
        .value_kind:     hidden_block_count_z
      - .offset:         76
        .size:           2
        .value_kind:     hidden_group_size_x
      - .offset:         78
        .size:           2
        .value_kind:     hidden_group_size_y
      - .offset:         80
        .size:           2
        .value_kind:     hidden_group_size_z
      - .offset:         82
        .size:           2
        .value_kind:     hidden_remainder_x
      - .offset:         84
        .size:           2
        .value_kind:     hidden_remainder_y
      - .offset:         86
        .size:           2
        .value_kind:     hidden_remainder_z
      - .offset:         104
        .size:           8
        .value_kind:     hidden_global_offset_x
      - .offset:         112
        .size:           8
        .value_kind:     hidden_global_offset_y
      - .offset:         120
        .size:           8
        .value_kind:     hidden_global_offset_z
      - .offset:         128
        .size:           2
        .value_kind:     hidden_grid_dims
    .group_segment_fixed_size: 0
    .kernarg_segment_align: 8
    .kernarg_segment_size: 320
    .language:       OpenCL C
    .language_version:
      - 2
      - 0
    .max_flat_workgroup_size: 1024
    .name:           _ZN2at6native12_GLOBAL__N_136reflection_pad2d_backward_out_kernelIN3c107complexIfEEEEvPT_PKS6_lliiiiiii
    .private_segment_fixed_size: 0
    .sgpr_count:     47
    .sgpr_spill_count: 0
    .symbol:         _ZN2at6native12_GLOBAL__N_136reflection_pad2d_backward_out_kernelIN3c107complexIfEEEEvPT_PKS6_lliiiiiii.kd
    .uniform_work_group_size: 1
    .uses_dynamic_stack: false
    .vgpr_count:     17
    .vgpr_spill_count: 0
    .wavefront_size: 64
  - .agpr_count:     0
    .args:
      - .address_space:  global
        .offset:         0
        .size:           8
        .value_kind:     global_buffer
      - .address_space:  global
        .offset:         8
        .size:           8
        .value_kind:     global_buffer
      - .offset:         16
        .size:           8
        .value_kind:     by_value
      - .offset:         24
        .size:           8
        .value_kind:     by_value
      - .offset:         32
        .size:           4
        .value_kind:     by_value
      - .offset:         36
        .size:           4
        .value_kind:     by_value
      - .offset:         40
        .size:           4
        .value_kind:     by_value
      - .offset:         44
        .size:           4
        .value_kind:     by_value
      - .offset:         48
        .size:           4
        .value_kind:     by_value
      - .offset:         52
        .size:           4
        .value_kind:     by_value
      - .offset:         56
        .size:           4
        .value_kind:     by_value
      - .offset:         64
        .size:           4
        .value_kind:     hidden_block_count_x
      - .offset:         68
        .size:           4
        .value_kind:     hidden_block_count_y
      - .offset:         72
        .size:           4
        .value_kind:     hidden_block_count_z
      - .offset:         76
        .size:           2
        .value_kind:     hidden_group_size_x
      - .offset:         78
        .size:           2
        .value_kind:     hidden_group_size_y
      - .offset:         80
        .size:           2
        .value_kind:     hidden_group_size_z
      - .offset:         82
        .size:           2
        .value_kind:     hidden_remainder_x
      - .offset:         84
        .size:           2
        .value_kind:     hidden_remainder_y
      - .offset:         86
        .size:           2
        .value_kind:     hidden_remainder_z
      - .offset:         104
        .size:           8
        .value_kind:     hidden_global_offset_x
      - .offset:         112
        .size:           8
        .value_kind:     hidden_global_offset_y
      - .offset:         120
        .size:           8
        .value_kind:     hidden_global_offset_z
      - .offset:         128
        .size:           2
        .value_kind:     hidden_grid_dims
    .group_segment_fixed_size: 0
    .kernarg_segment_align: 8
    .kernarg_segment_size: 320
    .language:       OpenCL C
    .language_version:
      - 2
      - 0
    .max_flat_workgroup_size: 1024
    .name:           _ZN2at6native12_GLOBAL__N_140reflection_pad2d_backward_det_out_kernelIN3c104HalfEEEvPT_PKS5_lliiiiiii
    .private_segment_fixed_size: 0
    .sgpr_count:     78
    .sgpr_spill_count: 0
    .symbol:         _ZN2at6native12_GLOBAL__N_140reflection_pad2d_backward_det_out_kernelIN3c104HalfEEEvPT_PKS5_lliiiiiii.kd
    .uniform_work_group_size: 1
    .uses_dynamic_stack: false
    .vgpr_count:     36
    .vgpr_spill_count: 0
    .wavefront_size: 64
  - .agpr_count:     0
    .args:
      - .address_space:  global
        .offset:         0
        .size:           8
        .value_kind:     global_buffer
      - .address_space:  global
        .offset:         8
        .size:           8
        .value_kind:     global_buffer
      - .offset:         16
        .size:           8
        .value_kind:     by_value
      - .offset:         24
        .size:           8
        .value_kind:     by_value
      - .offset:         32
        .size:           4
        .value_kind:     by_value
      - .offset:         36
        .size:           4
        .value_kind:     by_value
      - .offset:         40
        .size:           4
        .value_kind:     by_value
      - .offset:         44
        .size:           4
        .value_kind:     by_value
      - .offset:         48
        .size:           4
        .value_kind:     by_value
      - .offset:         52
        .size:           4
        .value_kind:     by_value
      - .offset:         56
        .size:           4
        .value_kind:     by_value
      - .offset:         64
        .size:           4
        .value_kind:     hidden_block_count_x
      - .offset:         68
        .size:           4
        .value_kind:     hidden_block_count_y
      - .offset:         72
        .size:           4
        .value_kind:     hidden_block_count_z
      - .offset:         76
        .size:           2
        .value_kind:     hidden_group_size_x
      - .offset:         78
        .size:           2
        .value_kind:     hidden_group_size_y
      - .offset:         80
        .size:           2
        .value_kind:     hidden_group_size_z
      - .offset:         82
        .size:           2
        .value_kind:     hidden_remainder_x
      - .offset:         84
        .size:           2
        .value_kind:     hidden_remainder_y
      - .offset:         86
        .size:           2
        .value_kind:     hidden_remainder_z
      - .offset:         104
        .size:           8
        .value_kind:     hidden_global_offset_x
      - .offset:         112
        .size:           8
        .value_kind:     hidden_global_offset_y
      - .offset:         120
        .size:           8
        .value_kind:     hidden_global_offset_z
      - .offset:         128
        .size:           2
        .value_kind:     hidden_grid_dims
    .group_segment_fixed_size: 0
    .kernarg_segment_align: 8
    .kernarg_segment_size: 320
    .language:       OpenCL C
    .language_version:
      - 2
      - 0
    .max_flat_workgroup_size: 1024
    .name:           _ZN2at6native12_GLOBAL__N_136reflection_pad2d_backward_out_kernelIN3c104HalfEEEvPT_PKS5_lliiiiiii
    .private_segment_fixed_size: 0
    .sgpr_count:     47
    .sgpr_spill_count: 0
    .symbol:         _ZN2at6native12_GLOBAL__N_136reflection_pad2d_backward_out_kernelIN3c104HalfEEEvPT_PKS5_lliiiiiii.kd
    .uniform_work_group_size: 1
    .uses_dynamic_stack: false
    .vgpr_count:     17
    .vgpr_spill_count: 0
    .wavefront_size: 64
  - .agpr_count:     0
    .args:
      - .address_space:  global
        .offset:         0
        .size:           8
        .value_kind:     global_buffer
      - .address_space:  global
        .offset:         8
        .size:           8
        .value_kind:     global_buffer
      - .offset:         16
        .size:           8
        .value_kind:     by_value
      - .offset:         24
        .size:           8
        .value_kind:     by_value
      - .offset:         32
        .size:           4
        .value_kind:     by_value
      - .offset:         36
        .size:           4
        .value_kind:     by_value
      - .offset:         40
        .size:           4
        .value_kind:     by_value
      - .offset:         44
        .size:           4
        .value_kind:     by_value
      - .offset:         48
        .size:           4
        .value_kind:     by_value
      - .offset:         52
        .size:           4
        .value_kind:     by_value
      - .offset:         56
        .size:           4
        .value_kind:     by_value
      - .offset:         64
        .size:           4
        .value_kind:     hidden_block_count_x
      - .offset:         68
        .size:           4
        .value_kind:     hidden_block_count_y
      - .offset:         72
        .size:           4
        .value_kind:     hidden_block_count_z
      - .offset:         76
        .size:           2
        .value_kind:     hidden_group_size_x
      - .offset:         78
        .size:           2
        .value_kind:     hidden_group_size_y
      - .offset:         80
        .size:           2
        .value_kind:     hidden_group_size_z
      - .offset:         82
        .size:           2
        .value_kind:     hidden_remainder_x
      - .offset:         84
        .size:           2
        .value_kind:     hidden_remainder_y
      - .offset:         86
        .size:           2
        .value_kind:     hidden_remainder_z
      - .offset:         104
        .size:           8
        .value_kind:     hidden_global_offset_x
      - .offset:         112
        .size:           8
        .value_kind:     hidden_global_offset_y
      - .offset:         120
        .size:           8
        .value_kind:     hidden_global_offset_z
      - .offset:         128
        .size:           2
        .value_kind:     hidden_grid_dims
    .group_segment_fixed_size: 0
    .kernarg_segment_align: 8
    .kernarg_segment_size: 320
    .language:       OpenCL C
    .language_version:
      - 2
      - 0
    .max_flat_workgroup_size: 1024
    .name:           _ZN2at6native12_GLOBAL__N_140reflection_pad2d_backward_det_out_kernelIN3c108BFloat16EEEvPT_PKS5_lliiiiiii
    .private_segment_fixed_size: 0
    .sgpr_count:     79
    .sgpr_spill_count: 0
    .symbol:         _ZN2at6native12_GLOBAL__N_140reflection_pad2d_backward_det_out_kernelIN3c108BFloat16EEEvPT_PKS5_lliiiiiii.kd
    .uniform_work_group_size: 1
    .uses_dynamic_stack: false
    .vgpr_count:     38
    .vgpr_spill_count: 0
    .wavefront_size: 64
  - .agpr_count:     0
    .args:
      - .address_space:  global
        .offset:         0
        .size:           8
        .value_kind:     global_buffer
      - .address_space:  global
        .offset:         8
        .size:           8
        .value_kind:     global_buffer
      - .offset:         16
        .size:           8
        .value_kind:     by_value
      - .offset:         24
        .size:           8
        .value_kind:     by_value
      - .offset:         32
        .size:           4
        .value_kind:     by_value
      - .offset:         36
        .size:           4
        .value_kind:     by_value
      - .offset:         40
        .size:           4
        .value_kind:     by_value
      - .offset:         44
        .size:           4
        .value_kind:     by_value
      - .offset:         48
        .size:           4
        .value_kind:     by_value
      - .offset:         52
        .size:           4
        .value_kind:     by_value
      - .offset:         56
        .size:           4
        .value_kind:     by_value
      - .offset:         64
        .size:           4
        .value_kind:     hidden_block_count_x
      - .offset:         68
        .size:           4
        .value_kind:     hidden_block_count_y
      - .offset:         72
        .size:           4
        .value_kind:     hidden_block_count_z
      - .offset:         76
        .size:           2
        .value_kind:     hidden_group_size_x
      - .offset:         78
        .size:           2
        .value_kind:     hidden_group_size_y
      - .offset:         80
        .size:           2
        .value_kind:     hidden_group_size_z
      - .offset:         82
        .size:           2
        .value_kind:     hidden_remainder_x
      - .offset:         84
        .size:           2
        .value_kind:     hidden_remainder_y
      - .offset:         86
        .size:           2
        .value_kind:     hidden_remainder_z
      - .offset:         104
        .size:           8
        .value_kind:     hidden_global_offset_x
      - .offset:         112
        .size:           8
        .value_kind:     hidden_global_offset_y
      - .offset:         120
        .size:           8
        .value_kind:     hidden_global_offset_z
      - .offset:         128
        .size:           2
        .value_kind:     hidden_grid_dims
    .group_segment_fixed_size: 0
    .kernarg_segment_align: 8
    .kernarg_segment_size: 320
    .language:       OpenCL C
    .language_version:
      - 2
      - 0
    .max_flat_workgroup_size: 1024
    .name:           _ZN2at6native12_GLOBAL__N_136reflection_pad2d_backward_out_kernelIN3c108BFloat16EEEvPT_PKS5_lliiiiiii
    .private_segment_fixed_size: 0
    .sgpr_count:     47
    .sgpr_spill_count: 0
    .symbol:         _ZN2at6native12_GLOBAL__N_136reflection_pad2d_backward_out_kernelIN3c108BFloat16EEEvPT_PKS5_lliiiiiii.kd
    .uniform_work_group_size: 1
    .uses_dynamic_stack: false
    .vgpr_count:     17
    .vgpr_spill_count: 0
    .wavefront_size: 64
  - .agpr_count:     0
    .args:
      - .address_space:  global
        .offset:         0
        .size:           8
        .value_kind:     global_buffer
      - .address_space:  global
        .offset:         8
        .size:           8
        .value_kind:     global_buffer
      - .offset:         16
        .size:           8
        .value_kind:     by_value
      - .offset:         24
        .size:           8
        .value_kind:     by_value
      - .offset:         32
        .size:           8
        .value_kind:     by_value
      - .offset:         40
        .size:           4
        .value_kind:     hidden_block_count_x
      - .offset:         44
        .size:           4
        .value_kind:     hidden_block_count_y
      - .offset:         48
        .size:           4
        .value_kind:     hidden_block_count_z
      - .offset:         52
        .size:           2
        .value_kind:     hidden_group_size_x
      - .offset:         54
        .size:           2
        .value_kind:     hidden_group_size_y
      - .offset:         56
        .size:           2
        .value_kind:     hidden_group_size_z
      - .offset:         58
        .size:           2
        .value_kind:     hidden_remainder_x
      - .offset:         60
        .size:           2
        .value_kind:     hidden_remainder_y
      - .offset:         62
        .size:           2
        .value_kind:     hidden_remainder_z
      - .offset:         80
        .size:           8
        .value_kind:     hidden_global_offset_x
      - .offset:         88
        .size:           8
        .value_kind:     hidden_global_offset_y
      - .offset:         96
        .size:           8
        .value_kind:     hidden_global_offset_z
      - .offset:         104
        .size:           2
        .value_kind:     hidden_grid_dims
    .group_segment_fixed_size: 0
    .kernarg_segment_align: 8
    .kernarg_segment_size: 296
    .language:       OpenCL C
    .language_version:
      - 2
      - 0
    .max_flat_workgroup_size: 1024
    .name:           _ZN2at6native12_GLOBAL__N_127reflection_pad1d_out_kernelIhEEvPKT_PS3_lll
    .private_segment_fixed_size: 0
    .sgpr_count:     25
    .sgpr_spill_count: 0
    .symbol:         _ZN2at6native12_GLOBAL__N_127reflection_pad1d_out_kernelIhEEvPKT_PS3_lll.kd
    .uniform_work_group_size: 1
    .uses_dynamic_stack: false
    .vgpr_count:     7
    .vgpr_spill_count: 0
    .wavefront_size: 64
  - .agpr_count:     0
    .args:
      - .actual_access:  read_only
        .address_space:  global
        .offset:         0
        .size:           8
        .value_kind:     global_buffer
      - .actual_access:  write_only
        .address_space:  global
        .offset:         8
        .size:           8
        .value_kind:     global_buffer
      - .offset:         16
        .size:           8
        .value_kind:     by_value
      - .offset:         24
        .size:           8
        .value_kind:     by_value
      - .offset:         32
        .size:           8
        .value_kind:     by_value
      - .offset:         40
        .size:           8
        .value_kind:     by_value
      - .offset:         48
        .size:           8
        .value_kind:     by_value
      - .offset:         56
        .size:           4
        .value_kind:     hidden_block_count_x
      - .offset:         60
        .size:           4
        .value_kind:     hidden_block_count_y
      - .offset:         64
        .size:           4
        .value_kind:     hidden_block_count_z
      - .offset:         68
        .size:           2
        .value_kind:     hidden_group_size_x
      - .offset:         70
        .size:           2
        .value_kind:     hidden_group_size_y
      - .offset:         72
        .size:           2
        .value_kind:     hidden_group_size_z
      - .offset:         74
        .size:           2
        .value_kind:     hidden_remainder_x
      - .offset:         76
        .size:           2
        .value_kind:     hidden_remainder_y
      - .offset:         78
        .size:           2
        .value_kind:     hidden_remainder_z
      - .offset:         96
        .size:           8
        .value_kind:     hidden_global_offset_x
      - .offset:         104
        .size:           8
        .value_kind:     hidden_global_offset_y
      - .offset:         112
        .size:           8
        .value_kind:     hidden_global_offset_z
      - .offset:         120
        .size:           2
        .value_kind:     hidden_grid_dims
    .group_segment_fixed_size: 0
    .kernarg_segment_align: 8
    .kernarg_segment_size: 312
    .language:       OpenCL C
    .language_version:
      - 2
      - 0
    .max_flat_workgroup_size: 1024
    .name:           _ZN2at6native12_GLOBAL__N_121reflection_pad1d_flatIhEEvPKT_PS3_lllll
    .private_segment_fixed_size: 0
    .sgpr_count:     89
    .sgpr_spill_count: 0
    .symbol:         _ZN2at6native12_GLOBAL__N_121reflection_pad1d_flatIhEEvPKT_PS3_lllll.kd
    .uniform_work_group_size: 1
    .uses_dynamic_stack: false
    .vgpr_count:     44
    .vgpr_spill_count: 0
    .wavefront_size: 64
  - .agpr_count:     0
    .args:
      - .address_space:  global
        .offset:         0
        .size:           8
        .value_kind:     global_buffer
      - .address_space:  global
        .offset:         8
        .size:           8
        .value_kind:     global_buffer
      - .offset:         16
        .size:           8
        .value_kind:     by_value
      - .offset:         24
        .size:           8
        .value_kind:     by_value
      - .offset:         32
        .size:           8
        .value_kind:     by_value
      - .offset:         40
        .size:           4
        .value_kind:     hidden_block_count_x
      - .offset:         44
        .size:           4
        .value_kind:     hidden_block_count_y
      - .offset:         48
        .size:           4
        .value_kind:     hidden_block_count_z
      - .offset:         52
        .size:           2
        .value_kind:     hidden_group_size_x
      - .offset:         54
        .size:           2
        .value_kind:     hidden_group_size_y
      - .offset:         56
        .size:           2
        .value_kind:     hidden_group_size_z
      - .offset:         58
        .size:           2
        .value_kind:     hidden_remainder_x
      - .offset:         60
        .size:           2
        .value_kind:     hidden_remainder_y
      - .offset:         62
        .size:           2
        .value_kind:     hidden_remainder_z
      - .offset:         80
        .size:           8
        .value_kind:     hidden_global_offset_x
      - .offset:         88
        .size:           8
        .value_kind:     hidden_global_offset_y
      - .offset:         96
        .size:           8
        .value_kind:     hidden_global_offset_z
      - .offset:         104
        .size:           2
        .value_kind:     hidden_grid_dims
    .group_segment_fixed_size: 0
    .kernarg_segment_align: 8
    .kernarg_segment_size: 296
    .language:       OpenCL C
    .language_version:
      - 2
      - 0
    .max_flat_workgroup_size: 1024
    .name:           _ZN2at6native12_GLOBAL__N_127reflection_pad1d_out_kernelIaEEvPKT_PS3_lll
    .private_segment_fixed_size: 0
    .sgpr_count:     25
    .sgpr_spill_count: 0
    .symbol:         _ZN2at6native12_GLOBAL__N_127reflection_pad1d_out_kernelIaEEvPKT_PS3_lll.kd
    .uniform_work_group_size: 1
    .uses_dynamic_stack: false
    .vgpr_count:     7
    .vgpr_spill_count: 0
    .wavefront_size: 64
  - .agpr_count:     0
    .args:
      - .actual_access:  read_only
        .address_space:  global
        .offset:         0
        .size:           8
        .value_kind:     global_buffer
      - .actual_access:  write_only
        .address_space:  global
        .offset:         8
        .size:           8
        .value_kind:     global_buffer
      - .offset:         16
        .size:           8
        .value_kind:     by_value
      - .offset:         24
        .size:           8
        .value_kind:     by_value
      - .offset:         32
        .size:           8
        .value_kind:     by_value
      - .offset:         40
        .size:           8
        .value_kind:     by_value
      - .offset:         48
        .size:           8
        .value_kind:     by_value
      - .offset:         56
        .size:           4
        .value_kind:     hidden_block_count_x
      - .offset:         60
        .size:           4
        .value_kind:     hidden_block_count_y
      - .offset:         64
        .size:           4
        .value_kind:     hidden_block_count_z
      - .offset:         68
        .size:           2
        .value_kind:     hidden_group_size_x
      - .offset:         70
        .size:           2
        .value_kind:     hidden_group_size_y
      - .offset:         72
        .size:           2
        .value_kind:     hidden_group_size_z
      - .offset:         74
        .size:           2
        .value_kind:     hidden_remainder_x
      - .offset:         76
        .size:           2
        .value_kind:     hidden_remainder_y
      - .offset:         78
        .size:           2
        .value_kind:     hidden_remainder_z
      - .offset:         96
        .size:           8
        .value_kind:     hidden_global_offset_x
      - .offset:         104
        .size:           8
        .value_kind:     hidden_global_offset_y
      - .offset:         112
        .size:           8
        .value_kind:     hidden_global_offset_z
      - .offset:         120
        .size:           2
        .value_kind:     hidden_grid_dims
    .group_segment_fixed_size: 0
    .kernarg_segment_align: 8
    .kernarg_segment_size: 312
    .language:       OpenCL C
    .language_version:
      - 2
      - 0
    .max_flat_workgroup_size: 1024
    .name:           _ZN2at6native12_GLOBAL__N_121reflection_pad1d_flatIaEEvPKT_PS3_lllll
    .private_segment_fixed_size: 0
    .sgpr_count:     89
    .sgpr_spill_count: 0
    .symbol:         _ZN2at6native12_GLOBAL__N_121reflection_pad1d_flatIaEEvPKT_PS3_lllll.kd
    .uniform_work_group_size: 1
    .uses_dynamic_stack: false
    .vgpr_count:     44
    .vgpr_spill_count: 0
    .wavefront_size: 64
  - .agpr_count:     0
    .args:
      - .address_space:  global
        .offset:         0
        .size:           8
        .value_kind:     global_buffer
      - .address_space:  global
        .offset:         8
        .size:           8
        .value_kind:     global_buffer
      - .offset:         16
        .size:           8
        .value_kind:     by_value
      - .offset:         24
        .size:           8
        .value_kind:     by_value
      - .offset:         32
        .size:           8
        .value_kind:     by_value
      - .offset:         40
        .size:           4
        .value_kind:     hidden_block_count_x
      - .offset:         44
        .size:           4
        .value_kind:     hidden_block_count_y
      - .offset:         48
        .size:           4
        .value_kind:     hidden_block_count_z
      - .offset:         52
        .size:           2
        .value_kind:     hidden_group_size_x
      - .offset:         54
        .size:           2
        .value_kind:     hidden_group_size_y
      - .offset:         56
        .size:           2
        .value_kind:     hidden_group_size_z
      - .offset:         58
        .size:           2
        .value_kind:     hidden_remainder_x
      - .offset:         60
        .size:           2
        .value_kind:     hidden_remainder_y
      - .offset:         62
        .size:           2
        .value_kind:     hidden_remainder_z
      - .offset:         80
        .size:           8
        .value_kind:     hidden_global_offset_x
      - .offset:         88
        .size:           8
        .value_kind:     hidden_global_offset_y
      - .offset:         96
        .size:           8
        .value_kind:     hidden_global_offset_z
      - .offset:         104
        .size:           2
        .value_kind:     hidden_grid_dims
    .group_segment_fixed_size: 0
    .kernarg_segment_align: 8
    .kernarg_segment_size: 296
    .language:       OpenCL C
    .language_version:
      - 2
      - 0
    .max_flat_workgroup_size: 1024
    .name:           _ZN2at6native12_GLOBAL__N_127reflection_pad1d_out_kernelIiEEvPKT_PS3_lll
    .private_segment_fixed_size: 0
    .sgpr_count:     24
    .sgpr_spill_count: 0
    .symbol:         _ZN2at6native12_GLOBAL__N_127reflection_pad1d_out_kernelIiEEvPKT_PS3_lll.kd
    .uniform_work_group_size: 1
    .uses_dynamic_stack: false
    .vgpr_count:     9
    .vgpr_spill_count: 0
    .wavefront_size: 64
  - .agpr_count:     0
    .args:
      - .actual_access:  read_only
        .address_space:  global
        .offset:         0
        .size:           8
        .value_kind:     global_buffer
      - .actual_access:  write_only
        .address_space:  global
        .offset:         8
        .size:           8
        .value_kind:     global_buffer
      - .offset:         16
        .size:           8
        .value_kind:     by_value
      - .offset:         24
        .size:           8
        .value_kind:     by_value
      - .offset:         32
        .size:           8
        .value_kind:     by_value
      - .offset:         40
        .size:           8
        .value_kind:     by_value
      - .offset:         48
        .size:           8
        .value_kind:     by_value
      - .offset:         56
        .size:           4
        .value_kind:     hidden_block_count_x
      - .offset:         60
        .size:           4
        .value_kind:     hidden_block_count_y
      - .offset:         64
        .size:           4
        .value_kind:     hidden_block_count_z
      - .offset:         68
        .size:           2
        .value_kind:     hidden_group_size_x
      - .offset:         70
        .size:           2
        .value_kind:     hidden_group_size_y
      - .offset:         72
        .size:           2
        .value_kind:     hidden_group_size_z
      - .offset:         74
        .size:           2
        .value_kind:     hidden_remainder_x
      - .offset:         76
        .size:           2
        .value_kind:     hidden_remainder_y
      - .offset:         78
        .size:           2
        .value_kind:     hidden_remainder_z
      - .offset:         96
        .size:           8
        .value_kind:     hidden_global_offset_x
      - .offset:         104
        .size:           8
        .value_kind:     hidden_global_offset_y
      - .offset:         112
        .size:           8
        .value_kind:     hidden_global_offset_z
      - .offset:         120
        .size:           2
        .value_kind:     hidden_grid_dims
    .group_segment_fixed_size: 0
    .kernarg_segment_align: 8
    .kernarg_segment_size: 312
    .language:       OpenCL C
    .language_version:
      - 2
      - 0
    .max_flat_workgroup_size: 1024
    .name:           _ZN2at6native12_GLOBAL__N_121reflection_pad1d_flatIiEEvPKT_PS3_lllll
    .private_segment_fixed_size: 0
    .sgpr_count:     70
    .sgpr_spill_count: 0
    .symbol:         _ZN2at6native12_GLOBAL__N_121reflection_pad1d_flatIiEEvPKT_PS3_lllll.kd
    .uniform_work_group_size: 1
    .uses_dynamic_stack: false
    .vgpr_count:     33
    .vgpr_spill_count: 0
    .wavefront_size: 64
  - .agpr_count:     0
    .args:
      - .address_space:  global
        .offset:         0
        .size:           8
        .value_kind:     global_buffer
      - .address_space:  global
        .offset:         8
        .size:           8
        .value_kind:     global_buffer
      - .offset:         16
        .size:           8
        .value_kind:     by_value
      - .offset:         24
        .size:           8
        .value_kind:     by_value
      - .offset:         32
        .size:           8
        .value_kind:     by_value
      - .offset:         40
        .size:           4
        .value_kind:     hidden_block_count_x
      - .offset:         44
        .size:           4
        .value_kind:     hidden_block_count_y
      - .offset:         48
        .size:           4
        .value_kind:     hidden_block_count_z
      - .offset:         52
        .size:           2
        .value_kind:     hidden_group_size_x
      - .offset:         54
        .size:           2
        .value_kind:     hidden_group_size_y
      - .offset:         56
        .size:           2
        .value_kind:     hidden_group_size_z
      - .offset:         58
        .size:           2
        .value_kind:     hidden_remainder_x
      - .offset:         60
        .size:           2
        .value_kind:     hidden_remainder_y
      - .offset:         62
        .size:           2
        .value_kind:     hidden_remainder_z
      - .offset:         80
        .size:           8
        .value_kind:     hidden_global_offset_x
      - .offset:         88
        .size:           8
        .value_kind:     hidden_global_offset_y
      - .offset:         96
        .size:           8
        .value_kind:     hidden_global_offset_z
      - .offset:         104
        .size:           2
        .value_kind:     hidden_grid_dims
    .group_segment_fixed_size: 0
    .kernarg_segment_align: 8
    .kernarg_segment_size: 296
    .language:       OpenCL C
    .language_version:
      - 2
      - 0
    .max_flat_workgroup_size: 1024
    .name:           _ZN2at6native12_GLOBAL__N_127reflection_pad1d_out_kernelIlEEvPKT_PS3_lll
    .private_segment_fixed_size: 0
    .sgpr_count:     24
    .sgpr_spill_count: 0
    .symbol:         _ZN2at6native12_GLOBAL__N_127reflection_pad1d_out_kernelIlEEvPKT_PS3_lll.kd
    .uniform_work_group_size: 1
    .uses_dynamic_stack: false
    .vgpr_count:     9
    .vgpr_spill_count: 0
    .wavefront_size: 64
  - .agpr_count:     0
    .args:
      - .actual_access:  read_only
        .address_space:  global
        .offset:         0
        .size:           8
        .value_kind:     global_buffer
      - .actual_access:  write_only
        .address_space:  global
        .offset:         8
        .size:           8
        .value_kind:     global_buffer
      - .offset:         16
        .size:           8
        .value_kind:     by_value
      - .offset:         24
        .size:           8
        .value_kind:     by_value
      - .offset:         32
        .size:           8
        .value_kind:     by_value
      - .offset:         40
        .size:           8
        .value_kind:     by_value
      - .offset:         48
        .size:           8
        .value_kind:     by_value
      - .offset:         56
        .size:           4
        .value_kind:     hidden_block_count_x
      - .offset:         60
        .size:           4
        .value_kind:     hidden_block_count_y
      - .offset:         64
        .size:           4
        .value_kind:     hidden_block_count_z
      - .offset:         68
        .size:           2
        .value_kind:     hidden_group_size_x
      - .offset:         70
        .size:           2
        .value_kind:     hidden_group_size_y
      - .offset:         72
        .size:           2
        .value_kind:     hidden_group_size_z
      - .offset:         74
        .size:           2
        .value_kind:     hidden_remainder_x
      - .offset:         76
        .size:           2
        .value_kind:     hidden_remainder_y
      - .offset:         78
        .size:           2
        .value_kind:     hidden_remainder_z
      - .offset:         96
        .size:           8
        .value_kind:     hidden_global_offset_x
      - .offset:         104
        .size:           8
        .value_kind:     hidden_global_offset_y
      - .offset:         112
        .size:           8
        .value_kind:     hidden_global_offset_z
      - .offset:         120
        .size:           2
        .value_kind:     hidden_grid_dims
    .group_segment_fixed_size: 0
    .kernarg_segment_align: 8
    .kernarg_segment_size: 312
    .language:       OpenCL C
    .language_version:
      - 2
      - 0
    .max_flat_workgroup_size: 1024
    .name:           _ZN2at6native12_GLOBAL__N_121reflection_pad1d_flatIlEEvPKT_PS3_lllll
    .private_segment_fixed_size: 0
    .sgpr_count:     44
    .sgpr_spill_count: 0
    .symbol:         _ZN2at6native12_GLOBAL__N_121reflection_pad1d_flatIlEEvPKT_PS3_lllll.kd
    .uniform_work_group_size: 1
    .uses_dynamic_stack: false
    .vgpr_count:     18
    .vgpr_spill_count: 0
    .wavefront_size: 64
  - .agpr_count:     0
    .args:
      - .address_space:  global
        .offset:         0
        .size:           8
        .value_kind:     global_buffer
      - .address_space:  global
        .offset:         8
        .size:           8
        .value_kind:     global_buffer
      - .offset:         16
        .size:           8
        .value_kind:     by_value
      - .offset:         24
        .size:           8
        .value_kind:     by_value
      - .offset:         32
        .size:           8
        .value_kind:     by_value
      - .offset:         40
        .size:           4
        .value_kind:     hidden_block_count_x
      - .offset:         44
        .size:           4
        .value_kind:     hidden_block_count_y
      - .offset:         48
        .size:           4
        .value_kind:     hidden_block_count_z
      - .offset:         52
        .size:           2
        .value_kind:     hidden_group_size_x
      - .offset:         54
        .size:           2
        .value_kind:     hidden_group_size_y
      - .offset:         56
        .size:           2
        .value_kind:     hidden_group_size_z
      - .offset:         58
        .size:           2
        .value_kind:     hidden_remainder_x
      - .offset:         60
        .size:           2
        .value_kind:     hidden_remainder_y
      - .offset:         62
        .size:           2
        .value_kind:     hidden_remainder_z
      - .offset:         80
        .size:           8
        .value_kind:     hidden_global_offset_x
      - .offset:         88
        .size:           8
        .value_kind:     hidden_global_offset_y
      - .offset:         96
        .size:           8
        .value_kind:     hidden_global_offset_z
      - .offset:         104
        .size:           2
        .value_kind:     hidden_grid_dims
    .group_segment_fixed_size: 0
    .kernarg_segment_align: 8
    .kernarg_segment_size: 296
    .language:       OpenCL C
    .language_version:
      - 2
      - 0
    .max_flat_workgroup_size: 1024
    .name:           _ZN2at6native12_GLOBAL__N_127reflection_pad1d_out_kernelIsEEvPKT_PS3_lll
    .private_segment_fixed_size: 0
    .sgpr_count:     24
    .sgpr_spill_count: 0
    .symbol:         _ZN2at6native12_GLOBAL__N_127reflection_pad1d_out_kernelIsEEvPKT_PS3_lll.kd
    .uniform_work_group_size: 1
    .uses_dynamic_stack: false
    .vgpr_count:     9
    .vgpr_spill_count: 0
    .wavefront_size: 64
  - .agpr_count:     0
    .args:
      - .actual_access:  read_only
        .address_space:  global
        .offset:         0
        .size:           8
        .value_kind:     global_buffer
      - .actual_access:  write_only
        .address_space:  global
        .offset:         8
        .size:           8
        .value_kind:     global_buffer
      - .offset:         16
        .size:           8
        .value_kind:     by_value
      - .offset:         24
        .size:           8
        .value_kind:     by_value
      - .offset:         32
        .size:           8
        .value_kind:     by_value
      - .offset:         40
        .size:           8
        .value_kind:     by_value
      - .offset:         48
        .size:           8
        .value_kind:     by_value
      - .offset:         56
        .size:           4
        .value_kind:     hidden_block_count_x
      - .offset:         60
        .size:           4
        .value_kind:     hidden_block_count_y
      - .offset:         64
        .size:           4
        .value_kind:     hidden_block_count_z
      - .offset:         68
        .size:           2
        .value_kind:     hidden_group_size_x
      - .offset:         70
        .size:           2
        .value_kind:     hidden_group_size_y
      - .offset:         72
        .size:           2
        .value_kind:     hidden_group_size_z
      - .offset:         74
        .size:           2
        .value_kind:     hidden_remainder_x
      - .offset:         76
        .size:           2
        .value_kind:     hidden_remainder_y
      - .offset:         78
        .size:           2
        .value_kind:     hidden_remainder_z
      - .offset:         96
        .size:           8
        .value_kind:     hidden_global_offset_x
      - .offset:         104
        .size:           8
        .value_kind:     hidden_global_offset_y
      - .offset:         112
        .size:           8
        .value_kind:     hidden_global_offset_z
      - .offset:         120
        .size:           2
        .value_kind:     hidden_grid_dims
    .group_segment_fixed_size: 0
    .kernarg_segment_align: 8
    .kernarg_segment_size: 312
    .language:       OpenCL C
    .language_version:
      - 2
      - 0
    .max_flat_workgroup_size: 1024
    .name:           _ZN2at6native12_GLOBAL__N_121reflection_pad1d_flatIsEEvPKT_PS3_lllll
    .private_segment_fixed_size: 0
    .sgpr_count:     79
    .sgpr_spill_count: 0
    .symbol:         _ZN2at6native12_GLOBAL__N_121reflection_pad1d_flatIsEEvPKT_PS3_lllll.kd
    .uniform_work_group_size: 1
    .uses_dynamic_stack: false
    .vgpr_count:     52
    .vgpr_spill_count: 0
    .wavefront_size: 64
  - .agpr_count:     0
    .args:
      - .address_space:  global
        .offset:         0
        .size:           8
        .value_kind:     global_buffer
      - .address_space:  global
        .offset:         8
        .size:           8
        .value_kind:     global_buffer
      - .offset:         16
        .size:           8
        .value_kind:     by_value
      - .offset:         24
        .size:           8
        .value_kind:     by_value
      - .offset:         32
        .size:           8
        .value_kind:     by_value
      - .offset:         40
        .size:           4
        .value_kind:     hidden_block_count_x
      - .offset:         44
        .size:           4
        .value_kind:     hidden_block_count_y
      - .offset:         48
        .size:           4
        .value_kind:     hidden_block_count_z
      - .offset:         52
        .size:           2
        .value_kind:     hidden_group_size_x
      - .offset:         54
        .size:           2
        .value_kind:     hidden_group_size_y
      - .offset:         56
        .size:           2
        .value_kind:     hidden_group_size_z
      - .offset:         58
        .size:           2
        .value_kind:     hidden_remainder_x
      - .offset:         60
        .size:           2
        .value_kind:     hidden_remainder_y
      - .offset:         62
        .size:           2
        .value_kind:     hidden_remainder_z
      - .offset:         80
        .size:           8
        .value_kind:     hidden_global_offset_x
      - .offset:         88
        .size:           8
        .value_kind:     hidden_global_offset_y
      - .offset:         96
        .size:           8
        .value_kind:     hidden_global_offset_z
      - .offset:         104
        .size:           2
        .value_kind:     hidden_grid_dims
    .group_segment_fixed_size: 0
    .kernarg_segment_align: 8
    .kernarg_segment_size: 296
    .language:       OpenCL C
    .language_version:
      - 2
      - 0
    .max_flat_workgroup_size: 1024
    .name:           _ZN2at6native12_GLOBAL__N_127reflection_pad1d_out_kernelIdEEvPKT_PS3_lll
    .private_segment_fixed_size: 0
    .sgpr_count:     24
    .sgpr_spill_count: 0
    .symbol:         _ZN2at6native12_GLOBAL__N_127reflection_pad1d_out_kernelIdEEvPKT_PS3_lll.kd
    .uniform_work_group_size: 1
    .uses_dynamic_stack: false
    .vgpr_count:     9
    .vgpr_spill_count: 0
    .wavefront_size: 64
  - .agpr_count:     0
    .args:
      - .actual_access:  read_only
        .address_space:  global
        .offset:         0
        .size:           8
        .value_kind:     global_buffer
      - .actual_access:  write_only
        .address_space:  global
        .offset:         8
        .size:           8
        .value_kind:     global_buffer
      - .offset:         16
        .size:           8
        .value_kind:     by_value
      - .offset:         24
        .size:           8
        .value_kind:     by_value
      - .offset:         32
        .size:           8
        .value_kind:     by_value
      - .offset:         40
        .size:           8
        .value_kind:     by_value
      - .offset:         48
        .size:           8
        .value_kind:     by_value
      - .offset:         56
        .size:           4
        .value_kind:     hidden_block_count_x
      - .offset:         60
        .size:           4
        .value_kind:     hidden_block_count_y
      - .offset:         64
        .size:           4
        .value_kind:     hidden_block_count_z
      - .offset:         68
        .size:           2
        .value_kind:     hidden_group_size_x
      - .offset:         70
        .size:           2
        .value_kind:     hidden_group_size_y
      - .offset:         72
        .size:           2
        .value_kind:     hidden_group_size_z
      - .offset:         74
        .size:           2
        .value_kind:     hidden_remainder_x
      - .offset:         76
        .size:           2
        .value_kind:     hidden_remainder_y
      - .offset:         78
        .size:           2
        .value_kind:     hidden_remainder_z
      - .offset:         96
        .size:           8
        .value_kind:     hidden_global_offset_x
      - .offset:         104
        .size:           8
        .value_kind:     hidden_global_offset_y
      - .offset:         112
        .size:           8
        .value_kind:     hidden_global_offset_z
      - .offset:         120
        .size:           2
        .value_kind:     hidden_grid_dims
    .group_segment_fixed_size: 0
    .kernarg_segment_align: 8
    .kernarg_segment_size: 312
    .language:       OpenCL C
    .language_version:
      - 2
      - 0
    .max_flat_workgroup_size: 1024
    .name:           _ZN2at6native12_GLOBAL__N_121reflection_pad1d_flatIdEEvPKT_PS3_lllll
    .private_segment_fixed_size: 0
    .sgpr_count:     44
    .sgpr_spill_count: 0
    .symbol:         _ZN2at6native12_GLOBAL__N_121reflection_pad1d_flatIdEEvPKT_PS3_lllll.kd
    .uniform_work_group_size: 1
    .uses_dynamic_stack: false
    .vgpr_count:     18
    .vgpr_spill_count: 0
    .wavefront_size: 64
  - .agpr_count:     0
    .args:
      - .address_space:  global
        .offset:         0
        .size:           8
        .value_kind:     global_buffer
      - .address_space:  global
        .offset:         8
        .size:           8
        .value_kind:     global_buffer
      - .offset:         16
        .size:           8
        .value_kind:     by_value
      - .offset:         24
        .size:           8
        .value_kind:     by_value
      - .offset:         32
        .size:           8
        .value_kind:     by_value
      - .offset:         40
        .size:           4
        .value_kind:     hidden_block_count_x
      - .offset:         44
        .size:           4
        .value_kind:     hidden_block_count_y
      - .offset:         48
        .size:           4
        .value_kind:     hidden_block_count_z
      - .offset:         52
        .size:           2
        .value_kind:     hidden_group_size_x
      - .offset:         54
        .size:           2
        .value_kind:     hidden_group_size_y
      - .offset:         56
        .size:           2
        .value_kind:     hidden_group_size_z
      - .offset:         58
        .size:           2
        .value_kind:     hidden_remainder_x
      - .offset:         60
        .size:           2
        .value_kind:     hidden_remainder_y
      - .offset:         62
        .size:           2
        .value_kind:     hidden_remainder_z
      - .offset:         80
        .size:           8
        .value_kind:     hidden_global_offset_x
      - .offset:         88
        .size:           8
        .value_kind:     hidden_global_offset_y
      - .offset:         96
        .size:           8
        .value_kind:     hidden_global_offset_z
      - .offset:         104
        .size:           2
        .value_kind:     hidden_grid_dims
    .group_segment_fixed_size: 0
    .kernarg_segment_align: 8
    .kernarg_segment_size: 296
    .language:       OpenCL C
    .language_version:
      - 2
      - 0
    .max_flat_workgroup_size: 1024
    .name:           _ZN2at6native12_GLOBAL__N_127reflection_pad1d_out_kernelIfEEvPKT_PS3_lll
    .private_segment_fixed_size: 0
    .sgpr_count:     24
    .sgpr_spill_count: 0
    .symbol:         _ZN2at6native12_GLOBAL__N_127reflection_pad1d_out_kernelIfEEvPKT_PS3_lll.kd
    .uniform_work_group_size: 1
    .uses_dynamic_stack: false
    .vgpr_count:     9
    .vgpr_spill_count: 0
    .wavefront_size: 64
  - .agpr_count:     0
    .args:
      - .actual_access:  read_only
        .address_space:  global
        .offset:         0
        .size:           8
        .value_kind:     global_buffer
      - .actual_access:  write_only
        .address_space:  global
        .offset:         8
        .size:           8
        .value_kind:     global_buffer
      - .offset:         16
        .size:           8
        .value_kind:     by_value
      - .offset:         24
        .size:           8
        .value_kind:     by_value
      - .offset:         32
        .size:           8
        .value_kind:     by_value
      - .offset:         40
        .size:           8
        .value_kind:     by_value
      - .offset:         48
        .size:           8
        .value_kind:     by_value
      - .offset:         56
        .size:           4
        .value_kind:     hidden_block_count_x
      - .offset:         60
        .size:           4
        .value_kind:     hidden_block_count_y
      - .offset:         64
        .size:           4
        .value_kind:     hidden_block_count_z
      - .offset:         68
        .size:           2
        .value_kind:     hidden_group_size_x
      - .offset:         70
        .size:           2
        .value_kind:     hidden_group_size_y
      - .offset:         72
        .size:           2
        .value_kind:     hidden_group_size_z
      - .offset:         74
        .size:           2
        .value_kind:     hidden_remainder_x
      - .offset:         76
        .size:           2
        .value_kind:     hidden_remainder_y
      - .offset:         78
        .size:           2
        .value_kind:     hidden_remainder_z
      - .offset:         96
        .size:           8
        .value_kind:     hidden_global_offset_x
      - .offset:         104
        .size:           8
        .value_kind:     hidden_global_offset_y
      - .offset:         112
        .size:           8
        .value_kind:     hidden_global_offset_z
      - .offset:         120
        .size:           2
        .value_kind:     hidden_grid_dims
    .group_segment_fixed_size: 0
    .kernarg_segment_align: 8
    .kernarg_segment_size: 312
    .language:       OpenCL C
    .language_version:
      - 2
      - 0
    .max_flat_workgroup_size: 1024
    .name:           _ZN2at6native12_GLOBAL__N_121reflection_pad1d_flatIfEEvPKT_PS3_lllll
    .private_segment_fixed_size: 0
    .sgpr_count:     70
    .sgpr_spill_count: 0
    .symbol:         _ZN2at6native12_GLOBAL__N_121reflection_pad1d_flatIfEEvPKT_PS3_lllll.kd
    .uniform_work_group_size: 1
    .uses_dynamic_stack: false
    .vgpr_count:     33
    .vgpr_spill_count: 0
    .wavefront_size: 64
  - .agpr_count:     0
    .args:
      - .address_space:  global
        .offset:         0
        .size:           8
        .value_kind:     global_buffer
      - .address_space:  global
        .offset:         8
        .size:           8
        .value_kind:     global_buffer
      - .offset:         16
        .size:           8
        .value_kind:     by_value
      - .offset:         24
        .size:           8
        .value_kind:     by_value
      - .offset:         32
        .size:           8
        .value_kind:     by_value
      - .offset:         40
        .size:           4
        .value_kind:     hidden_block_count_x
      - .offset:         44
        .size:           4
        .value_kind:     hidden_block_count_y
      - .offset:         48
        .size:           4
        .value_kind:     hidden_block_count_z
      - .offset:         52
        .size:           2
        .value_kind:     hidden_group_size_x
      - .offset:         54
        .size:           2
        .value_kind:     hidden_group_size_y
      - .offset:         56
        .size:           2
        .value_kind:     hidden_group_size_z
      - .offset:         58
        .size:           2
        .value_kind:     hidden_remainder_x
      - .offset:         60
        .size:           2
        .value_kind:     hidden_remainder_y
      - .offset:         62
        .size:           2
        .value_kind:     hidden_remainder_z
      - .offset:         80
        .size:           8
        .value_kind:     hidden_global_offset_x
      - .offset:         88
        .size:           8
        .value_kind:     hidden_global_offset_y
      - .offset:         96
        .size:           8
        .value_kind:     hidden_global_offset_z
      - .offset:         104
        .size:           2
        .value_kind:     hidden_grid_dims
    .group_segment_fixed_size: 0
    .kernarg_segment_align: 8
    .kernarg_segment_size: 296
    .language:       OpenCL C
    .language_version:
      - 2
      - 0
    .max_flat_workgroup_size: 1024
    .name:           _ZN2at6native12_GLOBAL__N_127reflection_pad1d_out_kernelIN3c107complexIdEEEEvPKT_PS6_lll
    .private_segment_fixed_size: 0
    .sgpr_count:     24
    .sgpr_spill_count: 0
    .symbol:         _ZN2at6native12_GLOBAL__N_127reflection_pad1d_out_kernelIN3c107complexIdEEEEvPKT_PS6_lll.kd
    .uniform_work_group_size: 1
    .uses_dynamic_stack: false
    .vgpr_count:     9
    .vgpr_spill_count: 0
    .wavefront_size: 64
  - .agpr_count:     0
    .args:
      - .actual_access:  read_only
        .address_space:  global
        .offset:         0
        .size:           8
        .value_kind:     global_buffer
      - .actual_access:  write_only
        .address_space:  global
        .offset:         8
        .size:           8
        .value_kind:     global_buffer
      - .offset:         16
        .size:           8
        .value_kind:     by_value
      - .offset:         24
        .size:           8
        .value_kind:     by_value
      - .offset:         32
        .size:           8
        .value_kind:     by_value
      - .offset:         40
        .size:           8
        .value_kind:     by_value
      - .offset:         48
        .size:           8
        .value_kind:     by_value
      - .offset:         56
        .size:           4
        .value_kind:     hidden_block_count_x
      - .offset:         60
        .size:           4
        .value_kind:     hidden_block_count_y
      - .offset:         64
        .size:           4
        .value_kind:     hidden_block_count_z
      - .offset:         68
        .size:           2
        .value_kind:     hidden_group_size_x
      - .offset:         70
        .size:           2
        .value_kind:     hidden_group_size_y
      - .offset:         72
        .size:           2
        .value_kind:     hidden_group_size_z
      - .offset:         74
        .size:           2
        .value_kind:     hidden_remainder_x
      - .offset:         76
        .size:           2
        .value_kind:     hidden_remainder_y
      - .offset:         78
        .size:           2
        .value_kind:     hidden_remainder_z
      - .offset:         96
        .size:           8
        .value_kind:     hidden_global_offset_x
      - .offset:         104
        .size:           8
        .value_kind:     hidden_global_offset_y
      - .offset:         112
        .size:           8
        .value_kind:     hidden_global_offset_z
      - .offset:         120
        .size:           2
        .value_kind:     hidden_grid_dims
    .group_segment_fixed_size: 0
    .kernarg_segment_align: 8
    .kernarg_segment_size: 312
    .language:       OpenCL C
    .language_version:
      - 2
      - 0
    .max_flat_workgroup_size: 1024
    .name:           _ZN2at6native12_GLOBAL__N_121reflection_pad1d_flatIN3c107complexIdEEEEvPKT_PS6_lllll
    .private_segment_fixed_size: 0
    .sgpr_count:     44
    .sgpr_spill_count: 0
    .symbol:         _ZN2at6native12_GLOBAL__N_121reflection_pad1d_flatIN3c107complexIdEEEEvPKT_PS6_lllll.kd
    .uniform_work_group_size: 1
    .uses_dynamic_stack: false
    .vgpr_count:     18
    .vgpr_spill_count: 0
    .wavefront_size: 64
  - .agpr_count:     0
    .args:
      - .address_space:  global
        .offset:         0
        .size:           8
        .value_kind:     global_buffer
      - .address_space:  global
        .offset:         8
        .size:           8
        .value_kind:     global_buffer
      - .offset:         16
        .size:           8
        .value_kind:     by_value
      - .offset:         24
        .size:           8
        .value_kind:     by_value
      - .offset:         32
        .size:           8
        .value_kind:     by_value
      - .offset:         40
        .size:           4
        .value_kind:     hidden_block_count_x
      - .offset:         44
        .size:           4
        .value_kind:     hidden_block_count_y
      - .offset:         48
        .size:           4
        .value_kind:     hidden_block_count_z
      - .offset:         52
        .size:           2
        .value_kind:     hidden_group_size_x
      - .offset:         54
        .size:           2
        .value_kind:     hidden_group_size_y
      - .offset:         56
        .size:           2
        .value_kind:     hidden_group_size_z
      - .offset:         58
        .size:           2
        .value_kind:     hidden_remainder_x
      - .offset:         60
        .size:           2
        .value_kind:     hidden_remainder_y
      - .offset:         62
        .size:           2
        .value_kind:     hidden_remainder_z
      - .offset:         80
        .size:           8
        .value_kind:     hidden_global_offset_x
      - .offset:         88
        .size:           8
        .value_kind:     hidden_global_offset_y
      - .offset:         96
        .size:           8
        .value_kind:     hidden_global_offset_z
      - .offset:         104
        .size:           2
        .value_kind:     hidden_grid_dims
    .group_segment_fixed_size: 0
    .kernarg_segment_align: 8
    .kernarg_segment_size: 296
    .language:       OpenCL C
    .language_version:
      - 2
      - 0
    .max_flat_workgroup_size: 1024
    .name:           _ZN2at6native12_GLOBAL__N_127reflection_pad1d_out_kernelIN3c107complexIfEEEEvPKT_PS6_lll
    .private_segment_fixed_size: 0
    .sgpr_count:     24
    .sgpr_spill_count: 0
    .symbol:         _ZN2at6native12_GLOBAL__N_127reflection_pad1d_out_kernelIN3c107complexIfEEEEvPKT_PS6_lll.kd
    .uniform_work_group_size: 1
    .uses_dynamic_stack: false
    .vgpr_count:     9
    .vgpr_spill_count: 0
    .wavefront_size: 64
  - .agpr_count:     0
    .args:
      - .actual_access:  read_only
        .address_space:  global
        .offset:         0
        .size:           8
        .value_kind:     global_buffer
      - .actual_access:  write_only
        .address_space:  global
        .offset:         8
        .size:           8
        .value_kind:     global_buffer
      - .offset:         16
        .size:           8
        .value_kind:     by_value
      - .offset:         24
        .size:           8
        .value_kind:     by_value
      - .offset:         32
        .size:           8
        .value_kind:     by_value
      - .offset:         40
        .size:           8
        .value_kind:     by_value
      - .offset:         48
        .size:           8
        .value_kind:     by_value
      - .offset:         56
        .size:           4
        .value_kind:     hidden_block_count_x
      - .offset:         60
        .size:           4
        .value_kind:     hidden_block_count_y
      - .offset:         64
        .size:           4
        .value_kind:     hidden_block_count_z
      - .offset:         68
        .size:           2
        .value_kind:     hidden_group_size_x
      - .offset:         70
        .size:           2
        .value_kind:     hidden_group_size_y
      - .offset:         72
        .size:           2
        .value_kind:     hidden_group_size_z
      - .offset:         74
        .size:           2
        .value_kind:     hidden_remainder_x
      - .offset:         76
        .size:           2
        .value_kind:     hidden_remainder_y
      - .offset:         78
        .size:           2
        .value_kind:     hidden_remainder_z
      - .offset:         96
        .size:           8
        .value_kind:     hidden_global_offset_x
      - .offset:         104
        .size:           8
        .value_kind:     hidden_global_offset_y
      - .offset:         112
        .size:           8
        .value_kind:     hidden_global_offset_z
      - .offset:         120
        .size:           2
        .value_kind:     hidden_grid_dims
    .group_segment_fixed_size: 0
    .kernarg_segment_align: 8
    .kernarg_segment_size: 312
    .language:       OpenCL C
    .language_version:
      - 2
      - 0
    .max_flat_workgroup_size: 1024
    .name:           _ZN2at6native12_GLOBAL__N_121reflection_pad1d_flatIN3c107complexIfEEEEvPKT_PS6_lllll
    .private_segment_fixed_size: 0
    .sgpr_count:     44
    .sgpr_spill_count: 0
    .symbol:         _ZN2at6native12_GLOBAL__N_121reflection_pad1d_flatIN3c107complexIfEEEEvPKT_PS6_lllll.kd
    .uniform_work_group_size: 1
    .uses_dynamic_stack: false
    .vgpr_count:     18
    .vgpr_spill_count: 0
    .wavefront_size: 64
  - .agpr_count:     0
    .args:
      - .address_space:  global
        .offset:         0
        .size:           8
        .value_kind:     global_buffer
      - .address_space:  global
        .offset:         8
        .size:           8
        .value_kind:     global_buffer
      - .offset:         16
        .size:           8
        .value_kind:     by_value
      - .offset:         24
        .size:           8
        .value_kind:     by_value
      - .offset:         32
        .size:           8
        .value_kind:     by_value
      - .offset:         40
        .size:           4
        .value_kind:     hidden_block_count_x
      - .offset:         44
        .size:           4
        .value_kind:     hidden_block_count_y
      - .offset:         48
        .size:           4
        .value_kind:     hidden_block_count_z
      - .offset:         52
        .size:           2
        .value_kind:     hidden_group_size_x
      - .offset:         54
        .size:           2
        .value_kind:     hidden_group_size_y
      - .offset:         56
        .size:           2
        .value_kind:     hidden_group_size_z
      - .offset:         58
        .size:           2
        .value_kind:     hidden_remainder_x
      - .offset:         60
        .size:           2
        .value_kind:     hidden_remainder_y
      - .offset:         62
        .size:           2
        .value_kind:     hidden_remainder_z
      - .offset:         80
        .size:           8
        .value_kind:     hidden_global_offset_x
      - .offset:         88
        .size:           8
        .value_kind:     hidden_global_offset_y
      - .offset:         96
        .size:           8
        .value_kind:     hidden_global_offset_z
      - .offset:         104
        .size:           2
        .value_kind:     hidden_grid_dims
    .group_segment_fixed_size: 0
    .kernarg_segment_align: 8
    .kernarg_segment_size: 296
    .language:       OpenCL C
    .language_version:
      - 2
      - 0
    .max_flat_workgroup_size: 1024
    .name:           _ZN2at6native12_GLOBAL__N_127reflection_pad1d_out_kernelIN3c104HalfEEEvPKT_PS5_lll
    .private_segment_fixed_size: 0
    .sgpr_count:     24
    .sgpr_spill_count: 0
    .symbol:         _ZN2at6native12_GLOBAL__N_127reflection_pad1d_out_kernelIN3c104HalfEEEvPKT_PS5_lll.kd
    .uniform_work_group_size: 1
    .uses_dynamic_stack: false
    .vgpr_count:     9
    .vgpr_spill_count: 0
    .wavefront_size: 64
  - .agpr_count:     0
    .args:
      - .actual_access:  read_only
        .address_space:  global
        .offset:         0
        .size:           8
        .value_kind:     global_buffer
      - .actual_access:  write_only
        .address_space:  global
        .offset:         8
        .size:           8
        .value_kind:     global_buffer
      - .offset:         16
        .size:           8
        .value_kind:     by_value
      - .offset:         24
        .size:           8
        .value_kind:     by_value
      - .offset:         32
        .size:           8
        .value_kind:     by_value
      - .offset:         40
        .size:           8
        .value_kind:     by_value
      - .offset:         48
        .size:           8
        .value_kind:     by_value
      - .offset:         56
        .size:           4
        .value_kind:     hidden_block_count_x
      - .offset:         60
        .size:           4
        .value_kind:     hidden_block_count_y
      - .offset:         64
        .size:           4
        .value_kind:     hidden_block_count_z
      - .offset:         68
        .size:           2
        .value_kind:     hidden_group_size_x
      - .offset:         70
        .size:           2
        .value_kind:     hidden_group_size_y
      - .offset:         72
        .size:           2
        .value_kind:     hidden_group_size_z
      - .offset:         74
        .size:           2
        .value_kind:     hidden_remainder_x
      - .offset:         76
        .size:           2
        .value_kind:     hidden_remainder_y
      - .offset:         78
        .size:           2
        .value_kind:     hidden_remainder_z
      - .offset:         96
        .size:           8
        .value_kind:     hidden_global_offset_x
      - .offset:         104
        .size:           8
        .value_kind:     hidden_global_offset_y
      - .offset:         112
        .size:           8
        .value_kind:     hidden_global_offset_z
      - .offset:         120
        .size:           2
        .value_kind:     hidden_grid_dims
    .group_segment_fixed_size: 0
    .kernarg_segment_align: 8
    .kernarg_segment_size: 312
    .language:       OpenCL C
    .language_version:
      - 2
      - 0
    .max_flat_workgroup_size: 1024
    .name:           _ZN2at6native12_GLOBAL__N_121reflection_pad1d_flatIN3c104HalfEEEvPKT_PS5_lllll
    .private_segment_fixed_size: 0
    .sgpr_count:     79
    .sgpr_spill_count: 0
    .symbol:         _ZN2at6native12_GLOBAL__N_121reflection_pad1d_flatIN3c104HalfEEEvPKT_PS5_lllll.kd
    .uniform_work_group_size: 1
    .uses_dynamic_stack: false
    .vgpr_count:     52
    .vgpr_spill_count: 0
    .wavefront_size: 64
  - .agpr_count:     0
    .args:
      - .address_space:  global
        .offset:         0
        .size:           8
        .value_kind:     global_buffer
      - .address_space:  global
        .offset:         8
        .size:           8
        .value_kind:     global_buffer
      - .offset:         16
        .size:           8
        .value_kind:     by_value
      - .offset:         24
        .size:           8
        .value_kind:     by_value
      - .offset:         32
        .size:           8
        .value_kind:     by_value
      - .offset:         40
        .size:           4
        .value_kind:     hidden_block_count_x
      - .offset:         44
        .size:           4
        .value_kind:     hidden_block_count_y
      - .offset:         48
        .size:           4
        .value_kind:     hidden_block_count_z
      - .offset:         52
        .size:           2
        .value_kind:     hidden_group_size_x
      - .offset:         54
        .size:           2
        .value_kind:     hidden_group_size_y
      - .offset:         56
        .size:           2
        .value_kind:     hidden_group_size_z
      - .offset:         58
        .size:           2
        .value_kind:     hidden_remainder_x
      - .offset:         60
        .size:           2
        .value_kind:     hidden_remainder_y
      - .offset:         62
        .size:           2
        .value_kind:     hidden_remainder_z
      - .offset:         80
        .size:           8
        .value_kind:     hidden_global_offset_x
      - .offset:         88
        .size:           8
        .value_kind:     hidden_global_offset_y
      - .offset:         96
        .size:           8
        .value_kind:     hidden_global_offset_z
      - .offset:         104
        .size:           2
        .value_kind:     hidden_grid_dims
    .group_segment_fixed_size: 0
    .kernarg_segment_align: 8
    .kernarg_segment_size: 296
    .language:       OpenCL C
    .language_version:
      - 2
      - 0
    .max_flat_workgroup_size: 1024
    .name:           _ZN2at6native12_GLOBAL__N_127reflection_pad1d_out_kernelIN3c108BFloat16EEEvPKT_PS5_lll
    .private_segment_fixed_size: 0
    .sgpr_count:     24
    .sgpr_spill_count: 0
    .symbol:         _ZN2at6native12_GLOBAL__N_127reflection_pad1d_out_kernelIN3c108BFloat16EEEvPKT_PS5_lll.kd
    .uniform_work_group_size: 1
    .uses_dynamic_stack: false
    .vgpr_count:     9
    .vgpr_spill_count: 0
    .wavefront_size: 64
  - .agpr_count:     0
    .args:
      - .actual_access:  read_only
        .address_space:  global
        .offset:         0
        .size:           8
        .value_kind:     global_buffer
      - .actual_access:  write_only
        .address_space:  global
        .offset:         8
        .size:           8
        .value_kind:     global_buffer
      - .offset:         16
        .size:           8
        .value_kind:     by_value
      - .offset:         24
        .size:           8
        .value_kind:     by_value
      - .offset:         32
        .size:           8
        .value_kind:     by_value
      - .offset:         40
        .size:           8
        .value_kind:     by_value
      - .offset:         48
        .size:           8
        .value_kind:     by_value
      - .offset:         56
        .size:           4
        .value_kind:     hidden_block_count_x
      - .offset:         60
        .size:           4
        .value_kind:     hidden_block_count_y
      - .offset:         64
        .size:           4
        .value_kind:     hidden_block_count_z
      - .offset:         68
        .size:           2
        .value_kind:     hidden_group_size_x
      - .offset:         70
        .size:           2
        .value_kind:     hidden_group_size_y
      - .offset:         72
        .size:           2
        .value_kind:     hidden_group_size_z
      - .offset:         74
        .size:           2
        .value_kind:     hidden_remainder_x
      - .offset:         76
        .size:           2
        .value_kind:     hidden_remainder_y
      - .offset:         78
        .size:           2
        .value_kind:     hidden_remainder_z
      - .offset:         96
        .size:           8
        .value_kind:     hidden_global_offset_x
      - .offset:         104
        .size:           8
        .value_kind:     hidden_global_offset_y
      - .offset:         112
        .size:           8
        .value_kind:     hidden_global_offset_z
      - .offset:         120
        .size:           2
        .value_kind:     hidden_grid_dims
    .group_segment_fixed_size: 0
    .kernarg_segment_align: 8
    .kernarg_segment_size: 312
    .language:       OpenCL C
    .language_version:
      - 2
      - 0
    .max_flat_workgroup_size: 1024
    .name:           _ZN2at6native12_GLOBAL__N_121reflection_pad1d_flatIN3c108BFloat16EEEvPKT_PS5_lllll
    .private_segment_fixed_size: 0
    .sgpr_count:     79
    .sgpr_spill_count: 0
    .symbol:         _ZN2at6native12_GLOBAL__N_121reflection_pad1d_flatIN3c108BFloat16EEEvPKT_PS5_lllll.kd
    .uniform_work_group_size: 1
    .uses_dynamic_stack: false
    .vgpr_count:     52
    .vgpr_spill_count: 0
    .wavefront_size: 64
  - .agpr_count:     0
    .args:
      - .address_space:  global
        .offset:         0
        .size:           8
        .value_kind:     global_buffer
      - .address_space:  global
        .offset:         8
        .size:           8
        .value_kind:     global_buffer
      - .offset:         16
        .size:           8
        .value_kind:     by_value
      - .offset:         24
        .size:           8
        .value_kind:     by_value
      - .offset:         32
        .size:           8
        .value_kind:     by_value
      - .offset:         40
        .size:           4
        .value_kind:     hidden_block_count_x
      - .offset:         44
        .size:           4
        .value_kind:     hidden_block_count_y
      - .offset:         48
        .size:           4
        .value_kind:     hidden_block_count_z
      - .offset:         52
        .size:           2
        .value_kind:     hidden_group_size_x
      - .offset:         54
        .size:           2
        .value_kind:     hidden_group_size_y
      - .offset:         56
        .size:           2
        .value_kind:     hidden_group_size_z
      - .offset:         58
        .size:           2
        .value_kind:     hidden_remainder_x
      - .offset:         60
        .size:           2
        .value_kind:     hidden_remainder_y
      - .offset:         62
        .size:           2
        .value_kind:     hidden_remainder_z
      - .offset:         80
        .size:           8
        .value_kind:     hidden_global_offset_x
      - .offset:         88
        .size:           8
        .value_kind:     hidden_global_offset_y
      - .offset:         96
        .size:           8
        .value_kind:     hidden_global_offset_z
      - .offset:         104
        .size:           2
        .value_kind:     hidden_grid_dims
    .group_segment_fixed_size: 0
    .kernarg_segment_align: 8
    .kernarg_segment_size: 296
    .language:       OpenCL C
    .language_version:
      - 2
      - 0
    .max_flat_workgroup_size: 1024
    .name:           _ZN2at6native12_GLOBAL__N_136reflection_pad1d_backward_out_kernelIdEEvPT_PKS3_lll
    .private_segment_fixed_size: 0
    .sgpr_count:     26
    .sgpr_spill_count: 0
    .symbol:         _ZN2at6native12_GLOBAL__N_136reflection_pad1d_backward_out_kernelIdEEvPT_PKS3_lll.kd
    .uniform_work_group_size: 1
    .uses_dynamic_stack: false
    .vgpr_count:     11
    .vgpr_spill_count: 0
    .wavefront_size: 64
  - .agpr_count:     0
    .args:
      - .address_space:  global
        .offset:         0
        .size:           8
        .value_kind:     global_buffer
      - .actual_access:  read_only
        .address_space:  global
        .offset:         8
        .size:           8
        .value_kind:     global_buffer
      - .offset:         16
        .size:           8
        .value_kind:     by_value
      - .offset:         24
        .size:           8
        .value_kind:     by_value
      - .offset:         32
        .size:           8
        .value_kind:     by_value
      - .offset:         40
        .size:           8
        .value_kind:     by_value
      - .offset:         48
        .size:           4
        .value_kind:     hidden_block_count_x
      - .offset:         52
        .size:           4
        .value_kind:     hidden_block_count_y
      - .offset:         56
        .size:           4
        .value_kind:     hidden_block_count_z
      - .offset:         60
        .size:           2
        .value_kind:     hidden_group_size_x
      - .offset:         62
        .size:           2
        .value_kind:     hidden_group_size_y
      - .offset:         64
        .size:           2
        .value_kind:     hidden_group_size_z
      - .offset:         66
        .size:           2
        .value_kind:     hidden_remainder_x
      - .offset:         68
        .size:           2
        .value_kind:     hidden_remainder_y
      - .offset:         70
        .size:           2
        .value_kind:     hidden_remainder_z
      - .offset:         88
        .size:           8
        .value_kind:     hidden_global_offset_x
      - .offset:         96
        .size:           8
        .value_kind:     hidden_global_offset_y
      - .offset:         104
        .size:           8
        .value_kind:     hidden_global_offset_z
      - .offset:         112
        .size:           2
        .value_kind:     hidden_grid_dims
    .group_segment_fixed_size: 0
    .kernarg_segment_align: 8
    .kernarg_segment_size: 304
    .language:       OpenCL C
    .language_version:
      - 2
      - 0
    .max_flat_workgroup_size: 1024
    .name:           _ZN2at6native12_GLOBAL__N_130reflection_pad1d_backward_flatIdEEvPT_PKS3_llll
    .private_segment_fixed_size: 0
    .sgpr_count:     44
    .sgpr_spill_count: 0
    .symbol:         _ZN2at6native12_GLOBAL__N_130reflection_pad1d_backward_flatIdEEvPT_PKS3_llll.kd
    .uniform_work_group_size: 1
    .uses_dynamic_stack: false
    .vgpr_count:     18
    .vgpr_spill_count: 0
    .wavefront_size: 64
  - .agpr_count:     0
    .args:
      - .address_space:  global
        .offset:         0
        .size:           8
        .value_kind:     global_buffer
      - .address_space:  global
        .offset:         8
        .size:           8
        .value_kind:     global_buffer
      - .offset:         16
        .size:           8
        .value_kind:     by_value
      - .offset:         24
        .size:           8
        .value_kind:     by_value
      - .offset:         32
        .size:           8
        .value_kind:     by_value
      - .offset:         40
        .size:           4
        .value_kind:     hidden_block_count_x
      - .offset:         44
        .size:           4
        .value_kind:     hidden_block_count_y
      - .offset:         48
        .size:           4
        .value_kind:     hidden_block_count_z
      - .offset:         52
        .size:           2
        .value_kind:     hidden_group_size_x
      - .offset:         54
        .size:           2
        .value_kind:     hidden_group_size_y
      - .offset:         56
        .size:           2
        .value_kind:     hidden_group_size_z
      - .offset:         58
        .size:           2
        .value_kind:     hidden_remainder_x
      - .offset:         60
        .size:           2
        .value_kind:     hidden_remainder_y
      - .offset:         62
        .size:           2
        .value_kind:     hidden_remainder_z
      - .offset:         80
        .size:           8
        .value_kind:     hidden_global_offset_x
      - .offset:         88
        .size:           8
        .value_kind:     hidden_global_offset_y
      - .offset:         96
        .size:           8
        .value_kind:     hidden_global_offset_z
      - .offset:         104
        .size:           2
        .value_kind:     hidden_grid_dims
    .group_segment_fixed_size: 0
    .kernarg_segment_align: 8
    .kernarg_segment_size: 296
    .language:       OpenCL C
    .language_version:
      - 2
      - 0
    .max_flat_workgroup_size: 1024
    .name:           _ZN2at6native12_GLOBAL__N_136reflection_pad1d_backward_out_kernelIfEEvPT_PKS3_lll
    .private_segment_fixed_size: 0
    .sgpr_count:     26
    .sgpr_spill_count: 0
    .symbol:         _ZN2at6native12_GLOBAL__N_136reflection_pad1d_backward_out_kernelIfEEvPT_PKS3_lll.kd
    .uniform_work_group_size: 1
    .uses_dynamic_stack: false
    .vgpr_count:     10
    .vgpr_spill_count: 0
    .wavefront_size: 64
  - .agpr_count:     0
    .args:
      - .address_space:  global
        .offset:         0
        .size:           8
        .value_kind:     global_buffer
      - .actual_access:  read_only
        .address_space:  global
        .offset:         8
        .size:           8
        .value_kind:     global_buffer
      - .offset:         16
        .size:           8
        .value_kind:     by_value
      - .offset:         24
        .size:           8
        .value_kind:     by_value
      - .offset:         32
        .size:           8
        .value_kind:     by_value
      - .offset:         40
        .size:           8
        .value_kind:     by_value
      - .offset:         48
        .size:           4
        .value_kind:     hidden_block_count_x
      - .offset:         52
        .size:           4
        .value_kind:     hidden_block_count_y
      - .offset:         56
        .size:           4
        .value_kind:     hidden_block_count_z
      - .offset:         60
        .size:           2
        .value_kind:     hidden_group_size_x
      - .offset:         62
        .size:           2
        .value_kind:     hidden_group_size_y
      - .offset:         64
        .size:           2
        .value_kind:     hidden_group_size_z
      - .offset:         66
        .size:           2
        .value_kind:     hidden_remainder_x
      - .offset:         68
        .size:           2
        .value_kind:     hidden_remainder_y
      - .offset:         70
        .size:           2
        .value_kind:     hidden_remainder_z
      - .offset:         88
        .size:           8
        .value_kind:     hidden_global_offset_x
      - .offset:         96
        .size:           8
        .value_kind:     hidden_global_offset_y
      - .offset:         104
        .size:           8
        .value_kind:     hidden_global_offset_z
      - .offset:         112
        .size:           2
        .value_kind:     hidden_grid_dims
    .group_segment_fixed_size: 0
    .kernarg_segment_align: 8
    .kernarg_segment_size: 304
    .language:       OpenCL C
    .language_version:
      - 2
      - 0
    .max_flat_workgroup_size: 1024
    .name:           _ZN2at6native12_GLOBAL__N_130reflection_pad1d_backward_flatIfEEvPT_PKS3_llll
    .private_segment_fixed_size: 0
    .sgpr_count:     44
    .sgpr_spill_count: 0
    .symbol:         _ZN2at6native12_GLOBAL__N_130reflection_pad1d_backward_flatIfEEvPT_PKS3_llll.kd
    .uniform_work_group_size: 1
    .uses_dynamic_stack: false
    .vgpr_count:     18
    .vgpr_spill_count: 0
    .wavefront_size: 64
  - .agpr_count:     0
    .args:
      - .address_space:  global
        .offset:         0
        .size:           8
        .value_kind:     global_buffer
      - .address_space:  global
        .offset:         8
        .size:           8
        .value_kind:     global_buffer
      - .offset:         16
        .size:           8
        .value_kind:     by_value
      - .offset:         24
        .size:           8
        .value_kind:     by_value
      - .offset:         32
        .size:           8
        .value_kind:     by_value
      - .offset:         40
        .size:           4
        .value_kind:     hidden_block_count_x
      - .offset:         44
        .size:           4
        .value_kind:     hidden_block_count_y
      - .offset:         48
        .size:           4
        .value_kind:     hidden_block_count_z
      - .offset:         52
        .size:           2
        .value_kind:     hidden_group_size_x
      - .offset:         54
        .size:           2
        .value_kind:     hidden_group_size_y
      - .offset:         56
        .size:           2
        .value_kind:     hidden_group_size_z
      - .offset:         58
        .size:           2
        .value_kind:     hidden_remainder_x
      - .offset:         60
        .size:           2
        .value_kind:     hidden_remainder_y
      - .offset:         62
        .size:           2
        .value_kind:     hidden_remainder_z
      - .offset:         80
        .size:           8
        .value_kind:     hidden_global_offset_x
      - .offset:         88
        .size:           8
        .value_kind:     hidden_global_offset_y
      - .offset:         96
        .size:           8
        .value_kind:     hidden_global_offset_z
      - .offset:         104
        .size:           2
        .value_kind:     hidden_grid_dims
    .group_segment_fixed_size: 0
    .kernarg_segment_align: 8
    .kernarg_segment_size: 296
    .language:       OpenCL C
    .language_version:
      - 2
      - 0
    .max_flat_workgroup_size: 1024
    .name:           _ZN2at6native12_GLOBAL__N_136reflection_pad1d_backward_out_kernelIN3c107complexIdEEEEvPT_PKS6_lll
    .private_segment_fixed_size: 0
    .sgpr_count:     26
    .sgpr_spill_count: 0
    .symbol:         _ZN2at6native12_GLOBAL__N_136reflection_pad1d_backward_out_kernelIN3c107complexIdEEEEvPT_PKS6_lll.kd
    .uniform_work_group_size: 1
    .uses_dynamic_stack: false
    .vgpr_count:     13
    .vgpr_spill_count: 0
    .wavefront_size: 64
  - .agpr_count:     0
    .args:
      - .address_space:  global
        .offset:         0
        .size:           8
        .value_kind:     global_buffer
      - .actual_access:  read_only
        .address_space:  global
        .offset:         8
        .size:           8
        .value_kind:     global_buffer
      - .offset:         16
        .size:           8
        .value_kind:     by_value
      - .offset:         24
        .size:           8
        .value_kind:     by_value
      - .offset:         32
        .size:           8
        .value_kind:     by_value
      - .offset:         40
        .size:           8
        .value_kind:     by_value
      - .offset:         48
        .size:           4
        .value_kind:     hidden_block_count_x
      - .offset:         52
        .size:           4
        .value_kind:     hidden_block_count_y
      - .offset:         56
        .size:           4
        .value_kind:     hidden_block_count_z
      - .offset:         60
        .size:           2
        .value_kind:     hidden_group_size_x
      - .offset:         62
        .size:           2
        .value_kind:     hidden_group_size_y
      - .offset:         64
        .size:           2
        .value_kind:     hidden_group_size_z
      - .offset:         66
        .size:           2
        .value_kind:     hidden_remainder_x
      - .offset:         68
        .size:           2
        .value_kind:     hidden_remainder_y
      - .offset:         70
        .size:           2
        .value_kind:     hidden_remainder_z
      - .offset:         88
        .size:           8
        .value_kind:     hidden_global_offset_x
      - .offset:         96
        .size:           8
        .value_kind:     hidden_global_offset_y
      - .offset:         104
        .size:           8
        .value_kind:     hidden_global_offset_z
      - .offset:         112
        .size:           2
        .value_kind:     hidden_grid_dims
    .group_segment_fixed_size: 0
    .kernarg_segment_align: 8
    .kernarg_segment_size: 304
    .language:       OpenCL C
    .language_version:
      - 2
      - 0
    .max_flat_workgroup_size: 1024
    .name:           _ZN2at6native12_GLOBAL__N_130reflection_pad1d_backward_flatIN3c107complexIdEEEEvPT_PKS6_llll
    .private_segment_fixed_size: 0
    .sgpr_count:     44
    .sgpr_spill_count: 0
    .symbol:         _ZN2at6native12_GLOBAL__N_130reflection_pad1d_backward_flatIN3c107complexIdEEEEvPT_PKS6_llll.kd
    .uniform_work_group_size: 1
    .uses_dynamic_stack: false
    .vgpr_count:     18
    .vgpr_spill_count: 0
    .wavefront_size: 64
  - .agpr_count:     0
    .args:
      - .address_space:  global
        .offset:         0
        .size:           8
        .value_kind:     global_buffer
      - .address_space:  global
        .offset:         8
        .size:           8
        .value_kind:     global_buffer
      - .offset:         16
        .size:           8
        .value_kind:     by_value
      - .offset:         24
        .size:           8
        .value_kind:     by_value
      - .offset:         32
        .size:           8
        .value_kind:     by_value
      - .offset:         40
        .size:           4
        .value_kind:     hidden_block_count_x
      - .offset:         44
        .size:           4
        .value_kind:     hidden_block_count_y
      - .offset:         48
        .size:           4
        .value_kind:     hidden_block_count_z
      - .offset:         52
        .size:           2
        .value_kind:     hidden_group_size_x
      - .offset:         54
        .size:           2
        .value_kind:     hidden_group_size_y
      - .offset:         56
        .size:           2
        .value_kind:     hidden_group_size_z
      - .offset:         58
        .size:           2
        .value_kind:     hidden_remainder_x
      - .offset:         60
        .size:           2
        .value_kind:     hidden_remainder_y
      - .offset:         62
        .size:           2
        .value_kind:     hidden_remainder_z
      - .offset:         80
        .size:           8
        .value_kind:     hidden_global_offset_x
      - .offset:         88
        .size:           8
        .value_kind:     hidden_global_offset_y
      - .offset:         96
        .size:           8
        .value_kind:     hidden_global_offset_z
      - .offset:         104
        .size:           2
        .value_kind:     hidden_grid_dims
    .group_segment_fixed_size: 0
    .kernarg_segment_align: 8
    .kernarg_segment_size: 296
    .language:       OpenCL C
    .language_version:
      - 2
      - 0
    .max_flat_workgroup_size: 1024
    .name:           _ZN2at6native12_GLOBAL__N_136reflection_pad1d_backward_out_kernelIN3c107complexIfEEEEvPT_PKS6_lll
    .private_segment_fixed_size: 0
    .sgpr_count:     26
    .sgpr_spill_count: 0
    .symbol:         _ZN2at6native12_GLOBAL__N_136reflection_pad1d_backward_out_kernelIN3c107complexIfEEEEvPT_PKS6_lll.kd
    .uniform_work_group_size: 1
    .uses_dynamic_stack: false
    .vgpr_count:     11
    .vgpr_spill_count: 0
    .wavefront_size: 64
  - .agpr_count:     0
    .args:
      - .address_space:  global
        .offset:         0
        .size:           8
        .value_kind:     global_buffer
      - .actual_access:  read_only
        .address_space:  global
        .offset:         8
        .size:           8
        .value_kind:     global_buffer
      - .offset:         16
        .size:           8
        .value_kind:     by_value
      - .offset:         24
        .size:           8
        .value_kind:     by_value
      - .offset:         32
        .size:           8
        .value_kind:     by_value
      - .offset:         40
        .size:           8
        .value_kind:     by_value
      - .offset:         48
        .size:           4
        .value_kind:     hidden_block_count_x
      - .offset:         52
        .size:           4
        .value_kind:     hidden_block_count_y
      - .offset:         56
        .size:           4
        .value_kind:     hidden_block_count_z
      - .offset:         60
        .size:           2
        .value_kind:     hidden_group_size_x
      - .offset:         62
        .size:           2
        .value_kind:     hidden_group_size_y
      - .offset:         64
        .size:           2
        .value_kind:     hidden_group_size_z
      - .offset:         66
        .size:           2
        .value_kind:     hidden_remainder_x
      - .offset:         68
        .size:           2
        .value_kind:     hidden_remainder_y
      - .offset:         70
        .size:           2
        .value_kind:     hidden_remainder_z
      - .offset:         88
        .size:           8
        .value_kind:     hidden_global_offset_x
      - .offset:         96
        .size:           8
        .value_kind:     hidden_global_offset_y
      - .offset:         104
        .size:           8
        .value_kind:     hidden_global_offset_z
      - .offset:         112
        .size:           2
        .value_kind:     hidden_grid_dims
    .group_segment_fixed_size: 0
    .kernarg_segment_align: 8
    .kernarg_segment_size: 304
    .language:       OpenCL C
    .language_version:
      - 2
      - 0
    .max_flat_workgroup_size: 1024
    .name:           _ZN2at6native12_GLOBAL__N_130reflection_pad1d_backward_flatIN3c107complexIfEEEEvPT_PKS6_llll
    .private_segment_fixed_size: 0
    .sgpr_count:     44
    .sgpr_spill_count: 0
    .symbol:         _ZN2at6native12_GLOBAL__N_130reflection_pad1d_backward_flatIN3c107complexIfEEEEvPT_PKS6_llll.kd
    .uniform_work_group_size: 1
    .uses_dynamic_stack: false
    .vgpr_count:     18
    .vgpr_spill_count: 0
    .wavefront_size: 64
  - .agpr_count:     0
    .args:
      - .address_space:  global
        .offset:         0
        .size:           8
        .value_kind:     global_buffer
      - .address_space:  global
        .offset:         8
        .size:           8
        .value_kind:     global_buffer
      - .offset:         16
        .size:           8
        .value_kind:     by_value
      - .offset:         24
        .size:           8
        .value_kind:     by_value
      - .offset:         32
        .size:           8
        .value_kind:     by_value
      - .offset:         40
        .size:           4
        .value_kind:     hidden_block_count_x
      - .offset:         44
        .size:           4
        .value_kind:     hidden_block_count_y
      - .offset:         48
        .size:           4
        .value_kind:     hidden_block_count_z
      - .offset:         52
        .size:           2
        .value_kind:     hidden_group_size_x
      - .offset:         54
        .size:           2
        .value_kind:     hidden_group_size_y
      - .offset:         56
        .size:           2
        .value_kind:     hidden_group_size_z
      - .offset:         58
        .size:           2
        .value_kind:     hidden_remainder_x
      - .offset:         60
        .size:           2
        .value_kind:     hidden_remainder_y
      - .offset:         62
        .size:           2
        .value_kind:     hidden_remainder_z
      - .offset:         80
        .size:           8
        .value_kind:     hidden_global_offset_x
      - .offset:         88
        .size:           8
        .value_kind:     hidden_global_offset_y
      - .offset:         96
        .size:           8
        .value_kind:     hidden_global_offset_z
      - .offset:         104
        .size:           2
        .value_kind:     hidden_grid_dims
    .group_segment_fixed_size: 0
    .kernarg_segment_align: 8
    .kernarg_segment_size: 296
    .language:       OpenCL C
    .language_version:
      - 2
      - 0
    .max_flat_workgroup_size: 1024
    .name:           _ZN2at6native12_GLOBAL__N_136reflection_pad1d_backward_out_kernelIN3c104HalfEEEvPT_PKS5_lll
    .private_segment_fixed_size: 0
    .sgpr_count:     24
    .sgpr_spill_count: 0
    .symbol:         _ZN2at6native12_GLOBAL__N_136reflection_pad1d_backward_out_kernelIN3c104HalfEEEvPT_PKS5_lll.kd
    .uniform_work_group_size: 1
    .uses_dynamic_stack: false
    .vgpr_count:     10
    .vgpr_spill_count: 0
    .wavefront_size: 64
  - .agpr_count:     0
    .args:
      - .address_space:  global
        .offset:         0
        .size:           8
        .value_kind:     global_buffer
      - .actual_access:  read_only
        .address_space:  global
        .offset:         8
        .size:           8
        .value_kind:     global_buffer
      - .offset:         16
        .size:           8
        .value_kind:     by_value
      - .offset:         24
        .size:           8
        .value_kind:     by_value
      - .offset:         32
        .size:           8
        .value_kind:     by_value
      - .offset:         40
        .size:           8
        .value_kind:     by_value
      - .offset:         48
        .size:           4
        .value_kind:     hidden_block_count_x
      - .offset:         52
        .size:           4
        .value_kind:     hidden_block_count_y
      - .offset:         56
        .size:           4
        .value_kind:     hidden_block_count_z
      - .offset:         60
        .size:           2
        .value_kind:     hidden_group_size_x
      - .offset:         62
        .size:           2
        .value_kind:     hidden_group_size_y
      - .offset:         64
        .size:           2
        .value_kind:     hidden_group_size_z
      - .offset:         66
        .size:           2
        .value_kind:     hidden_remainder_x
      - .offset:         68
        .size:           2
        .value_kind:     hidden_remainder_y
      - .offset:         70
        .size:           2
        .value_kind:     hidden_remainder_z
      - .offset:         88
        .size:           8
        .value_kind:     hidden_global_offset_x
      - .offset:         96
        .size:           8
        .value_kind:     hidden_global_offset_y
      - .offset:         104
        .size:           8
        .value_kind:     hidden_global_offset_z
      - .offset:         112
        .size:           2
        .value_kind:     hidden_grid_dims
    .group_segment_fixed_size: 0
    .kernarg_segment_align: 8
    .kernarg_segment_size: 304
    .language:       OpenCL C
    .language_version:
      - 2
      - 0
    .max_flat_workgroup_size: 1024
    .name:           _ZN2at6native12_GLOBAL__N_130reflection_pad1d_backward_flatIN3c104HalfEEEvPT_PKS5_llll
    .private_segment_fixed_size: 0
    .sgpr_count:     43
    .sgpr_spill_count: 0
    .symbol:         _ZN2at6native12_GLOBAL__N_130reflection_pad1d_backward_flatIN3c104HalfEEEvPT_PKS5_llll.kd
    .uniform_work_group_size: 1
    .uses_dynamic_stack: false
    .vgpr_count:     16
    .vgpr_spill_count: 0
    .wavefront_size: 64
  - .agpr_count:     0
    .args:
      - .address_space:  global
        .offset:         0
        .size:           8
        .value_kind:     global_buffer
      - .address_space:  global
        .offset:         8
        .size:           8
        .value_kind:     global_buffer
      - .offset:         16
        .size:           8
        .value_kind:     by_value
      - .offset:         24
        .size:           8
        .value_kind:     by_value
      - .offset:         32
        .size:           8
        .value_kind:     by_value
      - .offset:         40
        .size:           4
        .value_kind:     hidden_block_count_x
      - .offset:         44
        .size:           4
        .value_kind:     hidden_block_count_y
      - .offset:         48
        .size:           4
        .value_kind:     hidden_block_count_z
      - .offset:         52
        .size:           2
        .value_kind:     hidden_group_size_x
      - .offset:         54
        .size:           2
        .value_kind:     hidden_group_size_y
      - .offset:         56
        .size:           2
        .value_kind:     hidden_group_size_z
      - .offset:         58
        .size:           2
        .value_kind:     hidden_remainder_x
      - .offset:         60
        .size:           2
        .value_kind:     hidden_remainder_y
      - .offset:         62
        .size:           2
        .value_kind:     hidden_remainder_z
      - .offset:         80
        .size:           8
        .value_kind:     hidden_global_offset_x
      - .offset:         88
        .size:           8
        .value_kind:     hidden_global_offset_y
      - .offset:         96
        .size:           8
        .value_kind:     hidden_global_offset_z
      - .offset:         104
        .size:           2
        .value_kind:     hidden_grid_dims
    .group_segment_fixed_size: 0
    .kernarg_segment_align: 8
    .kernarg_segment_size: 296
    .language:       OpenCL C
    .language_version:
      - 2
      - 0
    .max_flat_workgroup_size: 1024
    .name:           _ZN2at6native12_GLOBAL__N_136reflection_pad1d_backward_out_kernelIN3c108BFloat16EEEvPT_PKS5_lll
    .private_segment_fixed_size: 0
    .sgpr_count:     24
    .sgpr_spill_count: 0
    .symbol:         _ZN2at6native12_GLOBAL__N_136reflection_pad1d_backward_out_kernelIN3c108BFloat16EEEvPT_PKS5_lll.kd
    .uniform_work_group_size: 1
    .uses_dynamic_stack: false
    .vgpr_count:     10
    .vgpr_spill_count: 0
    .wavefront_size: 64
  - .agpr_count:     0
    .args:
      - .address_space:  global
        .offset:         0
        .size:           8
        .value_kind:     global_buffer
      - .actual_access:  read_only
        .address_space:  global
        .offset:         8
        .size:           8
        .value_kind:     global_buffer
      - .offset:         16
        .size:           8
        .value_kind:     by_value
      - .offset:         24
        .size:           8
        .value_kind:     by_value
      - .offset:         32
        .size:           8
        .value_kind:     by_value
      - .offset:         40
        .size:           8
        .value_kind:     by_value
      - .offset:         48
        .size:           4
        .value_kind:     hidden_block_count_x
      - .offset:         52
        .size:           4
        .value_kind:     hidden_block_count_y
      - .offset:         56
        .size:           4
        .value_kind:     hidden_block_count_z
      - .offset:         60
        .size:           2
        .value_kind:     hidden_group_size_x
      - .offset:         62
        .size:           2
        .value_kind:     hidden_group_size_y
      - .offset:         64
        .size:           2
        .value_kind:     hidden_group_size_z
      - .offset:         66
        .size:           2
        .value_kind:     hidden_remainder_x
      - .offset:         68
        .size:           2
        .value_kind:     hidden_remainder_y
      - .offset:         70
        .size:           2
        .value_kind:     hidden_remainder_z
      - .offset:         88
        .size:           8
        .value_kind:     hidden_global_offset_x
      - .offset:         96
        .size:           8
        .value_kind:     hidden_global_offset_y
      - .offset:         104
        .size:           8
        .value_kind:     hidden_global_offset_z
      - .offset:         112
        .size:           2
        .value_kind:     hidden_grid_dims
    .group_segment_fixed_size: 0
    .kernarg_segment_align: 8
    .kernarg_segment_size: 304
    .language:       OpenCL C
    .language_version:
      - 2
      - 0
    .max_flat_workgroup_size: 1024
    .name:           _ZN2at6native12_GLOBAL__N_130reflection_pad1d_backward_flatIN3c108BFloat16EEEvPT_PKS5_llll
    .private_segment_fixed_size: 0
    .sgpr_count:     44
    .sgpr_spill_count: 0
    .symbol:         _ZN2at6native12_GLOBAL__N_130reflection_pad1d_backward_flatIN3c108BFloat16EEEvPT_PKS5_llll.kd
    .uniform_work_group_size: 1
    .uses_dynamic_stack: false
    .vgpr_count:     17
    .vgpr_spill_count: 0
    .wavefront_size: 64
  - .agpr_count:     0
    .args:
      - .offset:         0
        .size:           88
        .value_kind:     by_value
      - .offset:         88
        .size:           88
        .value_kind:     by_value
      - .offset:         176
        .size:           8
        .value_kind:     by_value
      - .offset:         184
        .size:           8
        .value_kind:     by_value
      - .offset:         192
        .size:           8
        .value_kind:     by_value
      - .offset:         200
        .size:           8
        .value_kind:     by_value
      - .offset:         208
        .size:           8
        .value_kind:     by_value
      - .offset:         216
        .size:           4
        .value_kind:     hidden_block_count_x
      - .offset:         220
        .size:           4
        .value_kind:     hidden_block_count_y
      - .offset:         224
        .size:           4
        .value_kind:     hidden_block_count_z
      - .offset:         228
        .size:           2
        .value_kind:     hidden_group_size_x
      - .offset:         230
        .size:           2
        .value_kind:     hidden_group_size_y
      - .offset:         232
        .size:           2
        .value_kind:     hidden_group_size_z
      - .offset:         234
        .size:           2
        .value_kind:     hidden_remainder_x
      - .offset:         236
        .size:           2
        .value_kind:     hidden_remainder_y
      - .offset:         238
        .size:           2
        .value_kind:     hidden_remainder_z
      - .offset:         256
        .size:           8
        .value_kind:     hidden_global_offset_x
      - .offset:         264
        .size:           8
        .value_kind:     hidden_global_offset_y
      - .offset:         272
        .size:           8
        .value_kind:     hidden_global_offset_z
      - .offset:         280
        .size:           2
        .value_kind:     hidden_grid_dims
    .group_segment_fixed_size: 0
    .kernarg_segment_align: 8
    .kernarg_segment_size: 472
    .language:       OpenCL C
    .language_version:
      - 2
      - 0
    .max_flat_workgroup_size: 1024
    .name:           _ZN2at6native12_GLOBAL__N_127reflection_pad3d_out_kernelIhEEvN5torch10headeronly6detail27GenericPackedTensorAccessorINS5_14TensorAccessorIN3c108ArrayRefIlEEKT_Lm4ENS4_16DefaultPtrTraitsElEENS_6detail16IndexBoundsCheckILm5ElEESC_Lm5ESD_lEENS6_INS7_ISA_SB_Lm4ESD_lEESH_SB_Lm5ESD_lEElllll
    .private_segment_fixed_size: 0
    .sgpr_count:     63
    .sgpr_spill_count: 0
    .symbol:         _ZN2at6native12_GLOBAL__N_127reflection_pad3d_out_kernelIhEEvN5torch10headeronly6detail27GenericPackedTensorAccessorINS5_14TensorAccessorIN3c108ArrayRefIlEEKT_Lm4ENS4_16DefaultPtrTraitsElEENS_6detail16IndexBoundsCheckILm5ElEESC_Lm5ESD_lEENS6_INS7_ISA_SB_Lm4ESD_lEESH_SB_Lm5ESD_lEElllll.kd
    .uniform_work_group_size: 1
    .uses_dynamic_stack: false
    .vgpr_count:     17
    .vgpr_spill_count: 0
    .wavefront_size: 64
  - .agpr_count:     0
    .args:
      - .offset:         0
        .size:           88
        .value_kind:     by_value
      - .offset:         88
        .size:           88
        .value_kind:     by_value
      - .offset:         176
        .size:           8
        .value_kind:     by_value
      - .offset:         184
        .size:           8
        .value_kind:     by_value
      - .offset:         192
        .size:           8
        .value_kind:     by_value
      - .offset:         200
        .size:           8
        .value_kind:     by_value
      - .offset:         208
        .size:           8
        .value_kind:     by_value
      - .offset:         216
        .size:           4
        .value_kind:     hidden_block_count_x
      - .offset:         220
        .size:           4
        .value_kind:     hidden_block_count_y
      - .offset:         224
        .size:           4
        .value_kind:     hidden_block_count_z
      - .offset:         228
        .size:           2
        .value_kind:     hidden_group_size_x
      - .offset:         230
        .size:           2
        .value_kind:     hidden_group_size_y
      - .offset:         232
        .size:           2
        .value_kind:     hidden_group_size_z
      - .offset:         234
        .size:           2
        .value_kind:     hidden_remainder_x
      - .offset:         236
        .size:           2
        .value_kind:     hidden_remainder_y
      - .offset:         238
        .size:           2
        .value_kind:     hidden_remainder_z
      - .offset:         256
        .size:           8
        .value_kind:     hidden_global_offset_x
      - .offset:         264
        .size:           8
        .value_kind:     hidden_global_offset_y
      - .offset:         272
        .size:           8
        .value_kind:     hidden_global_offset_z
      - .offset:         280
        .size:           2
        .value_kind:     hidden_grid_dims
    .group_segment_fixed_size: 0
    .kernarg_segment_align: 8
    .kernarg_segment_size: 472
    .language:       OpenCL C
    .language_version:
      - 2
      - 0
    .max_flat_workgroup_size: 1024
    .name:           _ZN2at6native12_GLOBAL__N_127reflection_pad3d_out_kernelIaEEvN5torch10headeronly6detail27GenericPackedTensorAccessorINS5_14TensorAccessorIN3c108ArrayRefIlEEKT_Lm4ENS4_16DefaultPtrTraitsElEENS_6detail16IndexBoundsCheckILm5ElEESC_Lm5ESD_lEENS6_INS7_ISA_SB_Lm4ESD_lEESH_SB_Lm5ESD_lEElllll
    .private_segment_fixed_size: 0
    .sgpr_count:     63
    .sgpr_spill_count: 0
    .symbol:         _ZN2at6native12_GLOBAL__N_127reflection_pad3d_out_kernelIaEEvN5torch10headeronly6detail27GenericPackedTensorAccessorINS5_14TensorAccessorIN3c108ArrayRefIlEEKT_Lm4ENS4_16DefaultPtrTraitsElEENS_6detail16IndexBoundsCheckILm5ElEESC_Lm5ESD_lEENS6_INS7_ISA_SB_Lm4ESD_lEESH_SB_Lm5ESD_lEElllll.kd
    .uniform_work_group_size: 1
    .uses_dynamic_stack: false
    .vgpr_count:     17
    .vgpr_spill_count: 0
    .wavefront_size: 64
  - .agpr_count:     0
    .args:
      - .offset:         0
        .size:           88
        .value_kind:     by_value
      - .offset:         88
        .size:           88
        .value_kind:     by_value
      - .offset:         176
        .size:           8
        .value_kind:     by_value
      - .offset:         184
        .size:           8
        .value_kind:     by_value
      - .offset:         192
        .size:           8
        .value_kind:     by_value
      - .offset:         200
        .size:           8
        .value_kind:     by_value
      - .offset:         208
        .size:           8
        .value_kind:     by_value
      - .offset:         216
        .size:           4
        .value_kind:     hidden_block_count_x
      - .offset:         220
        .size:           4
        .value_kind:     hidden_block_count_y
      - .offset:         224
        .size:           4
        .value_kind:     hidden_block_count_z
      - .offset:         228
        .size:           2
        .value_kind:     hidden_group_size_x
      - .offset:         230
        .size:           2
        .value_kind:     hidden_group_size_y
      - .offset:         232
        .size:           2
        .value_kind:     hidden_group_size_z
      - .offset:         234
        .size:           2
        .value_kind:     hidden_remainder_x
      - .offset:         236
        .size:           2
        .value_kind:     hidden_remainder_y
      - .offset:         238
        .size:           2
        .value_kind:     hidden_remainder_z
      - .offset:         256
        .size:           8
        .value_kind:     hidden_global_offset_x
      - .offset:         264
        .size:           8
        .value_kind:     hidden_global_offset_y
      - .offset:         272
        .size:           8
        .value_kind:     hidden_global_offset_z
      - .offset:         280
        .size:           2
        .value_kind:     hidden_grid_dims
    .group_segment_fixed_size: 0
    .kernarg_segment_align: 8
    .kernarg_segment_size: 472
    .language:       OpenCL C
    .language_version:
      - 2
      - 0
    .max_flat_workgroup_size: 1024
    .name:           _ZN2at6native12_GLOBAL__N_127reflection_pad3d_out_kernelIiEEvN5torch10headeronly6detail27GenericPackedTensorAccessorINS5_14TensorAccessorIN3c108ArrayRefIlEEKT_Lm4ENS4_16DefaultPtrTraitsElEENS_6detail16IndexBoundsCheckILm5ElEESC_Lm5ESD_lEENS6_INS7_ISA_SB_Lm4ESD_lEESH_SB_Lm5ESD_lEElllll
    .private_segment_fixed_size: 0
    .sgpr_count:     63
    .sgpr_spill_count: 0
    .symbol:         _ZN2at6native12_GLOBAL__N_127reflection_pad3d_out_kernelIiEEvN5torch10headeronly6detail27GenericPackedTensorAccessorINS5_14TensorAccessorIN3c108ArrayRefIlEEKT_Lm4ENS4_16DefaultPtrTraitsElEENS_6detail16IndexBoundsCheckILm5ElEESC_Lm5ESD_lEENS6_INS7_ISA_SB_Lm4ESD_lEESH_SB_Lm5ESD_lEElllll.kd
    .uniform_work_group_size: 1
    .uses_dynamic_stack: false
    .vgpr_count:     17
    .vgpr_spill_count: 0
    .wavefront_size: 64
  - .agpr_count:     0
    .args:
      - .offset:         0
        .size:           88
        .value_kind:     by_value
      - .offset:         88
        .size:           88
        .value_kind:     by_value
      - .offset:         176
        .size:           8
        .value_kind:     by_value
      - .offset:         184
        .size:           8
        .value_kind:     by_value
      - .offset:         192
        .size:           8
        .value_kind:     by_value
      - .offset:         200
        .size:           8
        .value_kind:     by_value
      - .offset:         208
        .size:           8
        .value_kind:     by_value
      - .offset:         216
        .size:           4
        .value_kind:     hidden_block_count_x
      - .offset:         220
        .size:           4
        .value_kind:     hidden_block_count_y
      - .offset:         224
        .size:           4
        .value_kind:     hidden_block_count_z
      - .offset:         228
        .size:           2
        .value_kind:     hidden_group_size_x
      - .offset:         230
        .size:           2
        .value_kind:     hidden_group_size_y
      - .offset:         232
        .size:           2
        .value_kind:     hidden_group_size_z
      - .offset:         234
        .size:           2
        .value_kind:     hidden_remainder_x
      - .offset:         236
        .size:           2
        .value_kind:     hidden_remainder_y
      - .offset:         238
        .size:           2
        .value_kind:     hidden_remainder_z
      - .offset:         256
        .size:           8
        .value_kind:     hidden_global_offset_x
      - .offset:         264
        .size:           8
        .value_kind:     hidden_global_offset_y
      - .offset:         272
        .size:           8
        .value_kind:     hidden_global_offset_z
      - .offset:         280
        .size:           2
        .value_kind:     hidden_grid_dims
    .group_segment_fixed_size: 0
    .kernarg_segment_align: 8
    .kernarg_segment_size: 472
    .language:       OpenCL C
    .language_version:
      - 2
      - 0
    .max_flat_workgroup_size: 1024
    .name:           _ZN2at6native12_GLOBAL__N_127reflection_pad3d_out_kernelIlEEvN5torch10headeronly6detail27GenericPackedTensorAccessorINS5_14TensorAccessorIN3c108ArrayRefIlEEKT_Lm4ENS4_16DefaultPtrTraitsElEENS_6detail16IndexBoundsCheckILm5ElEESC_Lm5ESD_lEENS6_INS7_ISA_SB_Lm4ESD_lEESH_SB_Lm5ESD_lEElllll
    .private_segment_fixed_size: 0
    .sgpr_count:     63
    .sgpr_spill_count: 0
    .symbol:         _ZN2at6native12_GLOBAL__N_127reflection_pad3d_out_kernelIlEEvN5torch10headeronly6detail27GenericPackedTensorAccessorINS5_14TensorAccessorIN3c108ArrayRefIlEEKT_Lm4ENS4_16DefaultPtrTraitsElEENS_6detail16IndexBoundsCheckILm5ElEESC_Lm5ESD_lEENS6_INS7_ISA_SB_Lm4ESD_lEESH_SB_Lm5ESD_lEElllll.kd
    .uniform_work_group_size: 1
    .uses_dynamic_stack: false
    .vgpr_count:     17
    .vgpr_spill_count: 0
    .wavefront_size: 64
  - .agpr_count:     0
    .args:
      - .offset:         0
        .size:           88
        .value_kind:     by_value
      - .offset:         88
        .size:           88
        .value_kind:     by_value
      - .offset:         176
        .size:           8
        .value_kind:     by_value
      - .offset:         184
        .size:           8
        .value_kind:     by_value
      - .offset:         192
        .size:           8
        .value_kind:     by_value
      - .offset:         200
        .size:           8
        .value_kind:     by_value
      - .offset:         208
        .size:           8
        .value_kind:     by_value
      - .offset:         216
        .size:           4
        .value_kind:     hidden_block_count_x
      - .offset:         220
        .size:           4
        .value_kind:     hidden_block_count_y
      - .offset:         224
        .size:           4
        .value_kind:     hidden_block_count_z
      - .offset:         228
        .size:           2
        .value_kind:     hidden_group_size_x
      - .offset:         230
        .size:           2
        .value_kind:     hidden_group_size_y
      - .offset:         232
        .size:           2
        .value_kind:     hidden_group_size_z
      - .offset:         234
        .size:           2
        .value_kind:     hidden_remainder_x
      - .offset:         236
        .size:           2
        .value_kind:     hidden_remainder_y
      - .offset:         238
        .size:           2
        .value_kind:     hidden_remainder_z
      - .offset:         256
        .size:           8
        .value_kind:     hidden_global_offset_x
      - .offset:         264
        .size:           8
        .value_kind:     hidden_global_offset_y
      - .offset:         272
        .size:           8
        .value_kind:     hidden_global_offset_z
      - .offset:         280
        .size:           2
        .value_kind:     hidden_grid_dims
    .group_segment_fixed_size: 0
    .kernarg_segment_align: 8
    .kernarg_segment_size: 472
    .language:       OpenCL C
    .language_version:
      - 2
      - 0
    .max_flat_workgroup_size: 1024
    .name:           _ZN2at6native12_GLOBAL__N_127reflection_pad3d_out_kernelIsEEvN5torch10headeronly6detail27GenericPackedTensorAccessorINS5_14TensorAccessorIN3c108ArrayRefIlEEKT_Lm4ENS4_16DefaultPtrTraitsElEENS_6detail16IndexBoundsCheckILm5ElEESC_Lm5ESD_lEENS6_INS7_ISA_SB_Lm4ESD_lEESH_SB_Lm5ESD_lEElllll
    .private_segment_fixed_size: 0
    .sgpr_count:     63
    .sgpr_spill_count: 0
    .symbol:         _ZN2at6native12_GLOBAL__N_127reflection_pad3d_out_kernelIsEEvN5torch10headeronly6detail27GenericPackedTensorAccessorINS5_14TensorAccessorIN3c108ArrayRefIlEEKT_Lm4ENS4_16DefaultPtrTraitsElEENS_6detail16IndexBoundsCheckILm5ElEESC_Lm5ESD_lEENS6_INS7_ISA_SB_Lm4ESD_lEESH_SB_Lm5ESD_lEElllll.kd
    .uniform_work_group_size: 1
    .uses_dynamic_stack: false
    .vgpr_count:     17
    .vgpr_spill_count: 0
    .wavefront_size: 64
  - .agpr_count:     0
    .args:
      - .offset:         0
        .size:           88
        .value_kind:     by_value
      - .offset:         88
        .size:           88
        .value_kind:     by_value
      - .offset:         176
        .size:           8
        .value_kind:     by_value
      - .offset:         184
        .size:           8
        .value_kind:     by_value
      - .offset:         192
        .size:           8
        .value_kind:     by_value
      - .offset:         200
        .size:           8
        .value_kind:     by_value
      - .offset:         208
        .size:           8
        .value_kind:     by_value
      - .offset:         216
        .size:           4
        .value_kind:     hidden_block_count_x
      - .offset:         220
        .size:           4
        .value_kind:     hidden_block_count_y
      - .offset:         224
        .size:           4
        .value_kind:     hidden_block_count_z
      - .offset:         228
        .size:           2
        .value_kind:     hidden_group_size_x
      - .offset:         230
        .size:           2
        .value_kind:     hidden_group_size_y
      - .offset:         232
        .size:           2
        .value_kind:     hidden_group_size_z
      - .offset:         234
        .size:           2
        .value_kind:     hidden_remainder_x
      - .offset:         236
        .size:           2
        .value_kind:     hidden_remainder_y
      - .offset:         238
        .size:           2
        .value_kind:     hidden_remainder_z
      - .offset:         256
        .size:           8
        .value_kind:     hidden_global_offset_x
      - .offset:         264
        .size:           8
        .value_kind:     hidden_global_offset_y
      - .offset:         272
        .size:           8
        .value_kind:     hidden_global_offset_z
      - .offset:         280
        .size:           2
        .value_kind:     hidden_grid_dims
    .group_segment_fixed_size: 0
    .kernarg_segment_align: 8
    .kernarg_segment_size: 472
    .language:       OpenCL C
    .language_version:
      - 2
      - 0
    .max_flat_workgroup_size: 1024
    .name:           _ZN2at6native12_GLOBAL__N_127reflection_pad3d_out_kernelIdEEvN5torch10headeronly6detail27GenericPackedTensorAccessorINS5_14TensorAccessorIN3c108ArrayRefIlEEKT_Lm4ENS4_16DefaultPtrTraitsElEENS_6detail16IndexBoundsCheckILm5ElEESC_Lm5ESD_lEENS6_INS7_ISA_SB_Lm4ESD_lEESH_SB_Lm5ESD_lEElllll
    .private_segment_fixed_size: 0
    .sgpr_count:     63
    .sgpr_spill_count: 0
    .symbol:         _ZN2at6native12_GLOBAL__N_127reflection_pad3d_out_kernelIdEEvN5torch10headeronly6detail27GenericPackedTensorAccessorINS5_14TensorAccessorIN3c108ArrayRefIlEEKT_Lm4ENS4_16DefaultPtrTraitsElEENS_6detail16IndexBoundsCheckILm5ElEESC_Lm5ESD_lEENS6_INS7_ISA_SB_Lm4ESD_lEESH_SB_Lm5ESD_lEElllll.kd
    .uniform_work_group_size: 1
    .uses_dynamic_stack: false
    .vgpr_count:     17
    .vgpr_spill_count: 0
    .wavefront_size: 64
  - .agpr_count:     0
    .args:
      - .offset:         0
        .size:           88
        .value_kind:     by_value
      - .offset:         88
        .size:           88
        .value_kind:     by_value
      - .offset:         176
        .size:           8
        .value_kind:     by_value
      - .offset:         184
        .size:           8
        .value_kind:     by_value
      - .offset:         192
        .size:           8
        .value_kind:     by_value
      - .offset:         200
        .size:           8
        .value_kind:     by_value
      - .offset:         208
        .size:           8
        .value_kind:     by_value
      - .offset:         216
        .size:           4
        .value_kind:     hidden_block_count_x
      - .offset:         220
        .size:           4
        .value_kind:     hidden_block_count_y
      - .offset:         224
        .size:           4
        .value_kind:     hidden_block_count_z
      - .offset:         228
        .size:           2
        .value_kind:     hidden_group_size_x
      - .offset:         230
        .size:           2
        .value_kind:     hidden_group_size_y
      - .offset:         232
        .size:           2
        .value_kind:     hidden_group_size_z
      - .offset:         234
        .size:           2
        .value_kind:     hidden_remainder_x
      - .offset:         236
        .size:           2
        .value_kind:     hidden_remainder_y
      - .offset:         238
        .size:           2
        .value_kind:     hidden_remainder_z
      - .offset:         256
        .size:           8
        .value_kind:     hidden_global_offset_x
      - .offset:         264
        .size:           8
        .value_kind:     hidden_global_offset_y
      - .offset:         272
        .size:           8
        .value_kind:     hidden_global_offset_z
      - .offset:         280
        .size:           2
        .value_kind:     hidden_grid_dims
    .group_segment_fixed_size: 0
    .kernarg_segment_align: 8
    .kernarg_segment_size: 472
    .language:       OpenCL C
    .language_version:
      - 2
      - 0
    .max_flat_workgroup_size: 1024
    .name:           _ZN2at6native12_GLOBAL__N_127reflection_pad3d_out_kernelIfEEvN5torch10headeronly6detail27GenericPackedTensorAccessorINS5_14TensorAccessorIN3c108ArrayRefIlEEKT_Lm4ENS4_16DefaultPtrTraitsElEENS_6detail16IndexBoundsCheckILm5ElEESC_Lm5ESD_lEENS6_INS7_ISA_SB_Lm4ESD_lEESH_SB_Lm5ESD_lEElllll
    .private_segment_fixed_size: 0
    .sgpr_count:     63
    .sgpr_spill_count: 0
    .symbol:         _ZN2at6native12_GLOBAL__N_127reflection_pad3d_out_kernelIfEEvN5torch10headeronly6detail27GenericPackedTensorAccessorINS5_14TensorAccessorIN3c108ArrayRefIlEEKT_Lm4ENS4_16DefaultPtrTraitsElEENS_6detail16IndexBoundsCheckILm5ElEESC_Lm5ESD_lEENS6_INS7_ISA_SB_Lm4ESD_lEESH_SB_Lm5ESD_lEElllll.kd
    .uniform_work_group_size: 1
    .uses_dynamic_stack: false
    .vgpr_count:     17
    .vgpr_spill_count: 0
    .wavefront_size: 64
  - .agpr_count:     0
    .args:
      - .offset:         0
        .size:           88
        .value_kind:     by_value
      - .offset:         88
        .size:           88
        .value_kind:     by_value
      - .offset:         176
        .size:           8
        .value_kind:     by_value
      - .offset:         184
        .size:           8
        .value_kind:     by_value
      - .offset:         192
        .size:           8
        .value_kind:     by_value
      - .offset:         200
        .size:           8
        .value_kind:     by_value
      - .offset:         208
        .size:           8
        .value_kind:     by_value
      - .offset:         216
        .size:           4
        .value_kind:     hidden_block_count_x
      - .offset:         220
        .size:           4
        .value_kind:     hidden_block_count_y
      - .offset:         224
        .size:           4
        .value_kind:     hidden_block_count_z
      - .offset:         228
        .size:           2
        .value_kind:     hidden_group_size_x
      - .offset:         230
        .size:           2
        .value_kind:     hidden_group_size_y
      - .offset:         232
        .size:           2
        .value_kind:     hidden_group_size_z
      - .offset:         234
        .size:           2
        .value_kind:     hidden_remainder_x
      - .offset:         236
        .size:           2
        .value_kind:     hidden_remainder_y
      - .offset:         238
        .size:           2
        .value_kind:     hidden_remainder_z
      - .offset:         256
        .size:           8
        .value_kind:     hidden_global_offset_x
      - .offset:         264
        .size:           8
        .value_kind:     hidden_global_offset_y
      - .offset:         272
        .size:           8
        .value_kind:     hidden_global_offset_z
      - .offset:         280
        .size:           2
        .value_kind:     hidden_grid_dims
    .group_segment_fixed_size: 0
    .kernarg_segment_align: 8
    .kernarg_segment_size: 472
    .language:       OpenCL C
    .language_version:
      - 2
      - 0
    .max_flat_workgroup_size: 1024
    .name:           _ZN2at6native12_GLOBAL__N_127reflection_pad3d_out_kernelIN3c107complexIdEEEEvN5torch10headeronly6detail27GenericPackedTensorAccessorINS8_14TensorAccessorINS3_8ArrayRefIlEEKT_Lm4ENS7_16DefaultPtrTraitsElEENS_6detail16IndexBoundsCheckILm5ElEESE_Lm5ESF_lEENS9_INSA_ISC_SD_Lm4ESF_lEESJ_SD_Lm5ESF_lEElllll
    .private_segment_fixed_size: 0
    .sgpr_count:     63
    .sgpr_spill_count: 0
    .symbol:         _ZN2at6native12_GLOBAL__N_127reflection_pad3d_out_kernelIN3c107complexIdEEEEvN5torch10headeronly6detail27GenericPackedTensorAccessorINS8_14TensorAccessorINS3_8ArrayRefIlEEKT_Lm4ENS7_16DefaultPtrTraitsElEENS_6detail16IndexBoundsCheckILm5ElEESE_Lm5ESF_lEENS9_INSA_ISC_SD_Lm4ESF_lEESJ_SD_Lm5ESF_lEElllll.kd
    .uniform_work_group_size: 1
    .uses_dynamic_stack: false
    .vgpr_count:     17
    .vgpr_spill_count: 0
    .wavefront_size: 64
  - .agpr_count:     0
    .args:
      - .offset:         0
        .size:           88
        .value_kind:     by_value
      - .offset:         88
        .size:           88
        .value_kind:     by_value
      - .offset:         176
        .size:           8
        .value_kind:     by_value
      - .offset:         184
        .size:           8
        .value_kind:     by_value
      - .offset:         192
        .size:           8
        .value_kind:     by_value
      - .offset:         200
        .size:           8
        .value_kind:     by_value
      - .offset:         208
        .size:           8
        .value_kind:     by_value
      - .offset:         216
        .size:           4
        .value_kind:     hidden_block_count_x
      - .offset:         220
        .size:           4
        .value_kind:     hidden_block_count_y
      - .offset:         224
        .size:           4
        .value_kind:     hidden_block_count_z
      - .offset:         228
        .size:           2
        .value_kind:     hidden_group_size_x
      - .offset:         230
        .size:           2
        .value_kind:     hidden_group_size_y
      - .offset:         232
        .size:           2
        .value_kind:     hidden_group_size_z
      - .offset:         234
        .size:           2
        .value_kind:     hidden_remainder_x
      - .offset:         236
        .size:           2
        .value_kind:     hidden_remainder_y
      - .offset:         238
        .size:           2
        .value_kind:     hidden_remainder_z
      - .offset:         256
        .size:           8
        .value_kind:     hidden_global_offset_x
      - .offset:         264
        .size:           8
        .value_kind:     hidden_global_offset_y
      - .offset:         272
        .size:           8
        .value_kind:     hidden_global_offset_z
      - .offset:         280
        .size:           2
        .value_kind:     hidden_grid_dims
    .group_segment_fixed_size: 0
    .kernarg_segment_align: 8
    .kernarg_segment_size: 472
    .language:       OpenCL C
    .language_version:
      - 2
      - 0
    .max_flat_workgroup_size: 1024
    .name:           _ZN2at6native12_GLOBAL__N_127reflection_pad3d_out_kernelIN3c107complexIfEEEEvN5torch10headeronly6detail27GenericPackedTensorAccessorINS8_14TensorAccessorINS3_8ArrayRefIlEEKT_Lm4ENS7_16DefaultPtrTraitsElEENS_6detail16IndexBoundsCheckILm5ElEESE_Lm5ESF_lEENS9_INSA_ISC_SD_Lm4ESF_lEESJ_SD_Lm5ESF_lEElllll
    .private_segment_fixed_size: 0
    .sgpr_count:     63
    .sgpr_spill_count: 0
    .symbol:         _ZN2at6native12_GLOBAL__N_127reflection_pad3d_out_kernelIN3c107complexIfEEEEvN5torch10headeronly6detail27GenericPackedTensorAccessorINS8_14TensorAccessorINS3_8ArrayRefIlEEKT_Lm4ENS7_16DefaultPtrTraitsElEENS_6detail16IndexBoundsCheckILm5ElEESE_Lm5ESF_lEENS9_INSA_ISC_SD_Lm4ESF_lEESJ_SD_Lm5ESF_lEElllll.kd
    .uniform_work_group_size: 1
    .uses_dynamic_stack: false
    .vgpr_count:     17
    .vgpr_spill_count: 0
    .wavefront_size: 64
  - .agpr_count:     0
    .args:
      - .offset:         0
        .size:           88
        .value_kind:     by_value
      - .offset:         88
        .size:           88
        .value_kind:     by_value
      - .offset:         176
        .size:           8
        .value_kind:     by_value
      - .offset:         184
        .size:           8
        .value_kind:     by_value
      - .offset:         192
        .size:           8
        .value_kind:     by_value
      - .offset:         200
        .size:           8
        .value_kind:     by_value
      - .offset:         208
        .size:           8
        .value_kind:     by_value
      - .offset:         216
        .size:           4
        .value_kind:     hidden_block_count_x
      - .offset:         220
        .size:           4
        .value_kind:     hidden_block_count_y
      - .offset:         224
        .size:           4
        .value_kind:     hidden_block_count_z
      - .offset:         228
        .size:           2
        .value_kind:     hidden_group_size_x
      - .offset:         230
        .size:           2
        .value_kind:     hidden_group_size_y
      - .offset:         232
        .size:           2
        .value_kind:     hidden_group_size_z
      - .offset:         234
        .size:           2
        .value_kind:     hidden_remainder_x
      - .offset:         236
        .size:           2
        .value_kind:     hidden_remainder_y
      - .offset:         238
        .size:           2
        .value_kind:     hidden_remainder_z
      - .offset:         256
        .size:           8
        .value_kind:     hidden_global_offset_x
      - .offset:         264
        .size:           8
        .value_kind:     hidden_global_offset_y
      - .offset:         272
        .size:           8
        .value_kind:     hidden_global_offset_z
      - .offset:         280
        .size:           2
        .value_kind:     hidden_grid_dims
    .group_segment_fixed_size: 0
    .kernarg_segment_align: 8
    .kernarg_segment_size: 472
    .language:       OpenCL C
    .language_version:
      - 2
      - 0
    .max_flat_workgroup_size: 1024
    .name:           _ZN2at6native12_GLOBAL__N_127reflection_pad3d_out_kernelIN3c104HalfEEEvN5torch10headeronly6detail27GenericPackedTensorAccessorINS7_14TensorAccessorINS3_8ArrayRefIlEEKT_Lm4ENS6_16DefaultPtrTraitsElEENS_6detail16IndexBoundsCheckILm5ElEESD_Lm5ESE_lEENS8_INS9_ISB_SC_Lm4ESE_lEESI_SC_Lm5ESE_lEElllll
    .private_segment_fixed_size: 0
    .sgpr_count:     63
    .sgpr_spill_count: 0
    .symbol:         _ZN2at6native12_GLOBAL__N_127reflection_pad3d_out_kernelIN3c104HalfEEEvN5torch10headeronly6detail27GenericPackedTensorAccessorINS7_14TensorAccessorINS3_8ArrayRefIlEEKT_Lm4ENS6_16DefaultPtrTraitsElEENS_6detail16IndexBoundsCheckILm5ElEESD_Lm5ESE_lEENS8_INS9_ISB_SC_Lm4ESE_lEESI_SC_Lm5ESE_lEElllll.kd
    .uniform_work_group_size: 1
    .uses_dynamic_stack: false
    .vgpr_count:     17
    .vgpr_spill_count: 0
    .wavefront_size: 64
  - .agpr_count:     0
    .args:
      - .offset:         0
        .size:           88
        .value_kind:     by_value
      - .offset:         88
        .size:           88
        .value_kind:     by_value
      - .offset:         176
        .size:           8
        .value_kind:     by_value
      - .offset:         184
        .size:           8
        .value_kind:     by_value
      - .offset:         192
        .size:           8
        .value_kind:     by_value
      - .offset:         200
        .size:           8
        .value_kind:     by_value
      - .offset:         208
        .size:           8
        .value_kind:     by_value
      - .offset:         216
        .size:           4
        .value_kind:     hidden_block_count_x
      - .offset:         220
        .size:           4
        .value_kind:     hidden_block_count_y
      - .offset:         224
        .size:           4
        .value_kind:     hidden_block_count_z
      - .offset:         228
        .size:           2
        .value_kind:     hidden_group_size_x
      - .offset:         230
        .size:           2
        .value_kind:     hidden_group_size_y
      - .offset:         232
        .size:           2
        .value_kind:     hidden_group_size_z
      - .offset:         234
        .size:           2
        .value_kind:     hidden_remainder_x
      - .offset:         236
        .size:           2
        .value_kind:     hidden_remainder_y
      - .offset:         238
        .size:           2
        .value_kind:     hidden_remainder_z
      - .offset:         256
        .size:           8
        .value_kind:     hidden_global_offset_x
      - .offset:         264
        .size:           8
        .value_kind:     hidden_global_offset_y
      - .offset:         272
        .size:           8
        .value_kind:     hidden_global_offset_z
      - .offset:         280
        .size:           2
        .value_kind:     hidden_grid_dims
    .group_segment_fixed_size: 0
    .kernarg_segment_align: 8
    .kernarg_segment_size: 472
    .language:       OpenCL C
    .language_version:
      - 2
      - 0
    .max_flat_workgroup_size: 1024
    .name:           _ZN2at6native12_GLOBAL__N_127reflection_pad3d_out_kernelIN3c108BFloat16EEEvN5torch10headeronly6detail27GenericPackedTensorAccessorINS7_14TensorAccessorINS3_8ArrayRefIlEEKT_Lm4ENS6_16DefaultPtrTraitsElEENS_6detail16IndexBoundsCheckILm5ElEESD_Lm5ESE_lEENS8_INS9_ISB_SC_Lm4ESE_lEESI_SC_Lm5ESE_lEElllll
    .private_segment_fixed_size: 0
    .sgpr_count:     63
    .sgpr_spill_count: 0
    .symbol:         _ZN2at6native12_GLOBAL__N_127reflection_pad3d_out_kernelIN3c108BFloat16EEEvN5torch10headeronly6detail27GenericPackedTensorAccessorINS7_14TensorAccessorINS3_8ArrayRefIlEEKT_Lm4ENS6_16DefaultPtrTraitsElEENS_6detail16IndexBoundsCheckILm5ElEESD_Lm5ESE_lEENS8_INS9_ISB_SC_Lm4ESE_lEESI_SC_Lm5ESE_lEElllll.kd
    .uniform_work_group_size: 1
    .uses_dynamic_stack: false
    .vgpr_count:     17
    .vgpr_spill_count: 0
    .wavefront_size: 64
  - .agpr_count:     0
    .args:
      - .offset:         0
        .size:           88
        .value_kind:     by_value
      - .offset:         88
        .size:           88
        .value_kind:     by_value
      - .offset:         176
        .size:           8
        .value_kind:     by_value
      - .offset:         184
        .size:           8
        .value_kind:     by_value
      - .offset:         192
        .size:           8
        .value_kind:     by_value
      - .offset:         200
        .size:           8
        .value_kind:     by_value
      - .offset:         208
        .size:           8
        .value_kind:     by_value
      - .offset:         216
        .size:           4
        .value_kind:     hidden_block_count_x
      - .offset:         220
        .size:           4
        .value_kind:     hidden_block_count_y
      - .offset:         224
        .size:           4
        .value_kind:     hidden_block_count_z
      - .offset:         228
        .size:           2
        .value_kind:     hidden_group_size_x
      - .offset:         230
        .size:           2
        .value_kind:     hidden_group_size_y
      - .offset:         232
        .size:           2
        .value_kind:     hidden_group_size_z
      - .offset:         234
        .size:           2
        .value_kind:     hidden_remainder_x
      - .offset:         236
        .size:           2
        .value_kind:     hidden_remainder_y
      - .offset:         238
        .size:           2
        .value_kind:     hidden_remainder_z
      - .offset:         256
        .size:           8
        .value_kind:     hidden_global_offset_x
      - .offset:         264
        .size:           8
        .value_kind:     hidden_global_offset_y
      - .offset:         272
        .size:           8
        .value_kind:     hidden_global_offset_z
      - .offset:         280
        .size:           2
        .value_kind:     hidden_grid_dims
    .group_segment_fixed_size: 0
    .kernarg_segment_align: 8
    .kernarg_segment_size: 472
    .language:       OpenCL C
    .language_version:
      - 2
      - 0
    .max_flat_workgroup_size: 1024
    .name:           _ZN2at6native12_GLOBAL__N_136reflection_pad3d_backward_out_kernelIdEEvN5torch10headeronly6detail27GenericPackedTensorAccessorINS5_14TensorAccessorIN3c108ArrayRefIlEET_Lm4ENS4_16DefaultPtrTraitsElEENS_6detail16IndexBoundsCheckILm5ElEESB_Lm5ESC_lEENS6_INS7_ISA_KSB_Lm4ESC_lEESG_SI_Lm5ESC_lEElllll
    .private_segment_fixed_size: 0
    .sgpr_count:     63
    .sgpr_spill_count: 0
    .symbol:         _ZN2at6native12_GLOBAL__N_136reflection_pad3d_backward_out_kernelIdEEvN5torch10headeronly6detail27GenericPackedTensorAccessorINS5_14TensorAccessorIN3c108ArrayRefIlEET_Lm4ENS4_16DefaultPtrTraitsElEENS_6detail16IndexBoundsCheckILm5ElEESB_Lm5ESC_lEENS6_INS7_ISA_KSB_Lm4ESC_lEESG_SI_Lm5ESC_lEElllll.kd
    .uniform_work_group_size: 1
    .uses_dynamic_stack: false
    .vgpr_count:     19
    .vgpr_spill_count: 0
    .wavefront_size: 64
  - .agpr_count:     0
    .args:
      - .offset:         0
        .size:           88
        .value_kind:     by_value
      - .offset:         88
        .size:           88
        .value_kind:     by_value
      - .offset:         176
        .size:           8
        .value_kind:     by_value
      - .offset:         184
        .size:           8
        .value_kind:     by_value
      - .offset:         192
        .size:           8
        .value_kind:     by_value
      - .offset:         200
        .size:           8
        .value_kind:     by_value
      - .offset:         208
        .size:           8
        .value_kind:     by_value
      - .offset:         216
        .size:           4
        .value_kind:     hidden_block_count_x
      - .offset:         220
        .size:           4
        .value_kind:     hidden_block_count_y
      - .offset:         224
        .size:           4
        .value_kind:     hidden_block_count_z
      - .offset:         228
        .size:           2
        .value_kind:     hidden_group_size_x
      - .offset:         230
        .size:           2
        .value_kind:     hidden_group_size_y
      - .offset:         232
        .size:           2
        .value_kind:     hidden_group_size_z
      - .offset:         234
        .size:           2
        .value_kind:     hidden_remainder_x
      - .offset:         236
        .size:           2
        .value_kind:     hidden_remainder_y
      - .offset:         238
        .size:           2
        .value_kind:     hidden_remainder_z
      - .offset:         256
        .size:           8
        .value_kind:     hidden_global_offset_x
      - .offset:         264
        .size:           8
        .value_kind:     hidden_global_offset_y
      - .offset:         272
        .size:           8
        .value_kind:     hidden_global_offset_z
      - .offset:         280
        .size:           2
        .value_kind:     hidden_grid_dims
    .group_segment_fixed_size: 0
    .kernarg_segment_align: 8
    .kernarg_segment_size: 472
    .language:       OpenCL C
    .language_version:
      - 2
      - 0
    .max_flat_workgroup_size: 1024
    .name:           _ZN2at6native12_GLOBAL__N_136reflection_pad3d_backward_out_kernelIfEEvN5torch10headeronly6detail27GenericPackedTensorAccessorINS5_14TensorAccessorIN3c108ArrayRefIlEET_Lm4ENS4_16DefaultPtrTraitsElEENS_6detail16IndexBoundsCheckILm5ElEESB_Lm5ESC_lEENS6_INS7_ISA_KSB_Lm4ESC_lEESG_SI_Lm5ESC_lEElllll
    .private_segment_fixed_size: 0
    .sgpr_count:     63
    .sgpr_spill_count: 0
    .symbol:         _ZN2at6native12_GLOBAL__N_136reflection_pad3d_backward_out_kernelIfEEvN5torch10headeronly6detail27GenericPackedTensorAccessorINS5_14TensorAccessorIN3c108ArrayRefIlEET_Lm4ENS4_16DefaultPtrTraitsElEENS_6detail16IndexBoundsCheckILm5ElEESB_Lm5ESC_lEENS6_INS7_ISA_KSB_Lm4ESC_lEESG_SI_Lm5ESC_lEElllll.kd
    .uniform_work_group_size: 1
    .uses_dynamic_stack: false
    .vgpr_count:     19
    .vgpr_spill_count: 0
    .wavefront_size: 64
  - .agpr_count:     0
    .args:
      - .offset:         0
        .size:           88
        .value_kind:     by_value
      - .offset:         88
        .size:           88
        .value_kind:     by_value
      - .offset:         176
        .size:           8
        .value_kind:     by_value
      - .offset:         184
        .size:           8
        .value_kind:     by_value
      - .offset:         192
        .size:           8
        .value_kind:     by_value
      - .offset:         200
        .size:           8
        .value_kind:     by_value
      - .offset:         208
        .size:           8
        .value_kind:     by_value
      - .offset:         216
        .size:           4
        .value_kind:     hidden_block_count_x
      - .offset:         220
        .size:           4
        .value_kind:     hidden_block_count_y
      - .offset:         224
        .size:           4
        .value_kind:     hidden_block_count_z
      - .offset:         228
        .size:           2
        .value_kind:     hidden_group_size_x
      - .offset:         230
        .size:           2
        .value_kind:     hidden_group_size_y
      - .offset:         232
        .size:           2
        .value_kind:     hidden_group_size_z
      - .offset:         234
        .size:           2
        .value_kind:     hidden_remainder_x
      - .offset:         236
        .size:           2
        .value_kind:     hidden_remainder_y
      - .offset:         238
        .size:           2
        .value_kind:     hidden_remainder_z
      - .offset:         256
        .size:           8
        .value_kind:     hidden_global_offset_x
      - .offset:         264
        .size:           8
        .value_kind:     hidden_global_offset_y
      - .offset:         272
        .size:           8
        .value_kind:     hidden_global_offset_z
      - .offset:         280
        .size:           2
        .value_kind:     hidden_grid_dims
    .group_segment_fixed_size: 0
    .kernarg_segment_align: 8
    .kernarg_segment_size: 472
    .language:       OpenCL C
    .language_version:
      - 2
      - 0
    .max_flat_workgroup_size: 1024
    .name:           _ZN2at6native12_GLOBAL__N_136reflection_pad3d_backward_out_kernelIN3c107complexIdEEEEvN5torch10headeronly6detail27GenericPackedTensorAccessorINS8_14TensorAccessorINS3_8ArrayRefIlEET_Lm4ENS7_16DefaultPtrTraitsElEENS_6detail16IndexBoundsCheckILm5ElEESD_Lm5ESE_lEENS9_INSA_ISC_KSD_Lm4ESE_lEESI_SK_Lm5ESE_lEElllll
    .private_segment_fixed_size: 0
    .sgpr_count:     63
    .sgpr_spill_count: 0
    .symbol:         _ZN2at6native12_GLOBAL__N_136reflection_pad3d_backward_out_kernelIN3c107complexIdEEEEvN5torch10headeronly6detail27GenericPackedTensorAccessorINS8_14TensorAccessorINS3_8ArrayRefIlEET_Lm4ENS7_16DefaultPtrTraitsElEENS_6detail16IndexBoundsCheckILm5ElEESD_Lm5ESE_lEENS9_INSA_ISC_KSD_Lm4ESE_lEESI_SK_Lm5ESE_lEElllll.kd
    .uniform_work_group_size: 1
    .uses_dynamic_stack: false
    .vgpr_count:     19
    .vgpr_spill_count: 0
    .wavefront_size: 64
  - .agpr_count:     0
    .args:
      - .offset:         0
        .size:           88
        .value_kind:     by_value
      - .offset:         88
        .size:           88
        .value_kind:     by_value
      - .offset:         176
        .size:           8
        .value_kind:     by_value
      - .offset:         184
        .size:           8
        .value_kind:     by_value
      - .offset:         192
        .size:           8
        .value_kind:     by_value
      - .offset:         200
        .size:           8
        .value_kind:     by_value
      - .offset:         208
        .size:           8
        .value_kind:     by_value
      - .offset:         216
        .size:           4
        .value_kind:     hidden_block_count_x
      - .offset:         220
        .size:           4
        .value_kind:     hidden_block_count_y
      - .offset:         224
        .size:           4
        .value_kind:     hidden_block_count_z
      - .offset:         228
        .size:           2
        .value_kind:     hidden_group_size_x
      - .offset:         230
        .size:           2
        .value_kind:     hidden_group_size_y
      - .offset:         232
        .size:           2
        .value_kind:     hidden_group_size_z
      - .offset:         234
        .size:           2
        .value_kind:     hidden_remainder_x
      - .offset:         236
        .size:           2
        .value_kind:     hidden_remainder_y
      - .offset:         238
        .size:           2
        .value_kind:     hidden_remainder_z
      - .offset:         256
        .size:           8
        .value_kind:     hidden_global_offset_x
      - .offset:         264
        .size:           8
        .value_kind:     hidden_global_offset_y
      - .offset:         272
        .size:           8
        .value_kind:     hidden_global_offset_z
      - .offset:         280
        .size:           2
        .value_kind:     hidden_grid_dims
    .group_segment_fixed_size: 0
    .kernarg_segment_align: 8
    .kernarg_segment_size: 472
    .language:       OpenCL C
    .language_version:
      - 2
      - 0
    .max_flat_workgroup_size: 1024
    .name:           _ZN2at6native12_GLOBAL__N_136reflection_pad3d_backward_out_kernelIN3c107complexIfEEEEvN5torch10headeronly6detail27GenericPackedTensorAccessorINS8_14TensorAccessorINS3_8ArrayRefIlEET_Lm4ENS7_16DefaultPtrTraitsElEENS_6detail16IndexBoundsCheckILm5ElEESD_Lm5ESE_lEENS9_INSA_ISC_KSD_Lm4ESE_lEESI_SK_Lm5ESE_lEElllll
    .private_segment_fixed_size: 0
    .sgpr_count:     63
    .sgpr_spill_count: 0
    .symbol:         _ZN2at6native12_GLOBAL__N_136reflection_pad3d_backward_out_kernelIN3c107complexIfEEEEvN5torch10headeronly6detail27GenericPackedTensorAccessorINS8_14TensorAccessorINS3_8ArrayRefIlEET_Lm4ENS7_16DefaultPtrTraitsElEENS_6detail16IndexBoundsCheckILm5ElEESD_Lm5ESE_lEENS9_INSA_ISC_KSD_Lm4ESE_lEESI_SK_Lm5ESE_lEElllll.kd
    .uniform_work_group_size: 1
    .uses_dynamic_stack: false
    .vgpr_count:     19
    .vgpr_spill_count: 0
    .wavefront_size: 64
  - .agpr_count:     0
    .args:
      - .offset:         0
        .size:           88
        .value_kind:     by_value
      - .offset:         88
        .size:           88
        .value_kind:     by_value
      - .offset:         176
        .size:           8
        .value_kind:     by_value
      - .offset:         184
        .size:           8
        .value_kind:     by_value
      - .offset:         192
        .size:           8
        .value_kind:     by_value
      - .offset:         200
        .size:           8
        .value_kind:     by_value
      - .offset:         208
        .size:           8
        .value_kind:     by_value
      - .offset:         216
        .size:           4
        .value_kind:     hidden_block_count_x
      - .offset:         220
        .size:           4
        .value_kind:     hidden_block_count_y
      - .offset:         224
        .size:           4
        .value_kind:     hidden_block_count_z
      - .offset:         228
        .size:           2
        .value_kind:     hidden_group_size_x
      - .offset:         230
        .size:           2
        .value_kind:     hidden_group_size_y
      - .offset:         232
        .size:           2
        .value_kind:     hidden_group_size_z
      - .offset:         234
        .size:           2
        .value_kind:     hidden_remainder_x
      - .offset:         236
        .size:           2
        .value_kind:     hidden_remainder_y
      - .offset:         238
        .size:           2
        .value_kind:     hidden_remainder_z
      - .offset:         256
        .size:           8
        .value_kind:     hidden_global_offset_x
      - .offset:         264
        .size:           8
        .value_kind:     hidden_global_offset_y
      - .offset:         272
        .size:           8
        .value_kind:     hidden_global_offset_z
      - .offset:         280
        .size:           2
        .value_kind:     hidden_grid_dims
    .group_segment_fixed_size: 0
    .kernarg_segment_align: 8
    .kernarg_segment_size: 472
    .language:       OpenCL C
    .language_version:
      - 2
      - 0
    .max_flat_workgroup_size: 1024
    .name:           _ZN2at6native12_GLOBAL__N_136reflection_pad3d_backward_out_kernelIN3c104HalfEEEvN5torch10headeronly6detail27GenericPackedTensorAccessorINS7_14TensorAccessorINS3_8ArrayRefIlEET_Lm4ENS6_16DefaultPtrTraitsElEENS_6detail16IndexBoundsCheckILm5ElEESC_Lm5ESD_lEENS8_INS9_ISB_KSC_Lm4ESD_lEESH_SJ_Lm5ESD_lEElllll
    .private_segment_fixed_size: 0
    .sgpr_count:     63
    .sgpr_spill_count: 0
    .symbol:         _ZN2at6native12_GLOBAL__N_136reflection_pad3d_backward_out_kernelIN3c104HalfEEEvN5torch10headeronly6detail27GenericPackedTensorAccessorINS7_14TensorAccessorINS3_8ArrayRefIlEET_Lm4ENS6_16DefaultPtrTraitsElEENS_6detail16IndexBoundsCheckILm5ElEESC_Lm5ESD_lEENS8_INS9_ISB_KSC_Lm4ESD_lEESH_SJ_Lm5ESD_lEElllll.kd
    .uniform_work_group_size: 1
    .uses_dynamic_stack: false
    .vgpr_count:     17
    .vgpr_spill_count: 0
    .wavefront_size: 64
  - .agpr_count:     0
    .args:
      - .offset:         0
        .size:           88
        .value_kind:     by_value
      - .offset:         88
        .size:           88
        .value_kind:     by_value
      - .offset:         176
        .size:           8
        .value_kind:     by_value
      - .offset:         184
        .size:           8
        .value_kind:     by_value
      - .offset:         192
        .size:           8
        .value_kind:     by_value
      - .offset:         200
        .size:           8
        .value_kind:     by_value
      - .offset:         208
        .size:           8
        .value_kind:     by_value
      - .offset:         216
        .size:           4
        .value_kind:     hidden_block_count_x
      - .offset:         220
        .size:           4
        .value_kind:     hidden_block_count_y
      - .offset:         224
        .size:           4
        .value_kind:     hidden_block_count_z
      - .offset:         228
        .size:           2
        .value_kind:     hidden_group_size_x
      - .offset:         230
        .size:           2
        .value_kind:     hidden_group_size_y
      - .offset:         232
        .size:           2
        .value_kind:     hidden_group_size_z
      - .offset:         234
        .size:           2
        .value_kind:     hidden_remainder_x
      - .offset:         236
        .size:           2
        .value_kind:     hidden_remainder_y
      - .offset:         238
        .size:           2
        .value_kind:     hidden_remainder_z
      - .offset:         256
        .size:           8
        .value_kind:     hidden_global_offset_x
      - .offset:         264
        .size:           8
        .value_kind:     hidden_global_offset_y
      - .offset:         272
        .size:           8
        .value_kind:     hidden_global_offset_z
      - .offset:         280
        .size:           2
        .value_kind:     hidden_grid_dims
    .group_segment_fixed_size: 0
    .kernarg_segment_align: 8
    .kernarg_segment_size: 472
    .language:       OpenCL C
    .language_version:
      - 2
      - 0
    .max_flat_workgroup_size: 1024
    .name:           _ZN2at6native12_GLOBAL__N_136reflection_pad3d_backward_out_kernelIN3c108BFloat16EEEvN5torch10headeronly6detail27GenericPackedTensorAccessorINS7_14TensorAccessorINS3_8ArrayRefIlEET_Lm4ENS6_16DefaultPtrTraitsElEENS_6detail16IndexBoundsCheckILm5ElEESC_Lm5ESD_lEENS8_INS9_ISB_KSC_Lm4ESD_lEESH_SJ_Lm5ESD_lEElllll
    .private_segment_fixed_size: 0
    .sgpr_count:     63
    .sgpr_spill_count: 0
    .symbol:         _ZN2at6native12_GLOBAL__N_136reflection_pad3d_backward_out_kernelIN3c108BFloat16EEEvN5torch10headeronly6detail27GenericPackedTensorAccessorINS7_14TensorAccessorINS3_8ArrayRefIlEET_Lm4ENS6_16DefaultPtrTraitsElEENS_6detail16IndexBoundsCheckILm5ElEESC_Lm5ESD_lEENS8_INS9_ISB_KSC_Lm4ESD_lEESH_SJ_Lm5ESD_lEElllll.kd
    .uniform_work_group_size: 1
    .uses_dynamic_stack: false
    .vgpr_count:     17
    .vgpr_spill_count: 0
    .wavefront_size: 64
amdhsa.target:   amdgcn-amd-amdhsa--gfx950
amdhsa.version:
  - 1
  - 2
...

	.end_amdgpu_metadata
